;; amdgpu-corpus repo=ROCm/rocFFT kind=compiled arch=gfx906 opt=O3
	.text
	.amdgcn_target "amdgcn-amd-amdhsa--gfx906"
	.amdhsa_code_object_version 6
	.protected	fft_rtc_fwd_len1188_factors_6_11_2_3_3_wgs_198_tpt_66_halfLds_sp_ip_CI_sbrr_dirReg ; -- Begin function fft_rtc_fwd_len1188_factors_6_11_2_3_3_wgs_198_tpt_66_halfLds_sp_ip_CI_sbrr_dirReg
	.globl	fft_rtc_fwd_len1188_factors_6_11_2_3_3_wgs_198_tpt_66_halfLds_sp_ip_CI_sbrr_dirReg
	.p2align	8
	.type	fft_rtc_fwd_len1188_factors_6_11_2_3_3_wgs_198_tpt_66_halfLds_sp_ip_CI_sbrr_dirReg,@function
fft_rtc_fwd_len1188_factors_6_11_2_3_3_wgs_198_tpt_66_halfLds_sp_ip_CI_sbrr_dirReg: ; @fft_rtc_fwd_len1188_factors_6_11_2_3_3_wgs_198_tpt_66_halfLds_sp_ip_CI_sbrr_dirReg
; %bb.0:
	s_load_dwordx2 s[14:15], s[4:5], 0x18
	s_load_dwordx4 s[8:11], s[4:5], 0x0
	s_load_dwordx2 s[12:13], s[4:5], 0x50
	v_mul_u32_u24_e32 v1, 0x3e1, v0
	v_lshrrev_b32_e32 v1, 16, v1
	s_waitcnt lgkmcnt(0)
	s_load_dwordx2 s[2:3], s[14:15], 0x0
	v_mad_u64_u32 v[1:2], s[0:1], s6, 3, v[1:2]
	v_mov_b32_e32 v5, 0
	v_cmp_lt_u64_e64 s[0:1], s[10:11], 2
	v_mov_b32_e32 v2, v5
	v_mov_b32_e32 v3, 0
	;; [unrolled: 1-line block ×3, first 2 shown]
	s_and_b64 vcc, exec, s[0:1]
	v_mov_b32_e32 v4, 0
	v_mov_b32_e32 v9, v1
	s_cbranch_vccnz .LBB0_8
; %bb.1:
	s_load_dwordx2 s[0:1], s[4:5], 0x10
	s_add_u32 s6, s14, 8
	s_addc_u32 s7, s15, 0
	v_mov_b32_e32 v3, 0
	v_mov_b32_e32 v8, v2
	s_waitcnt lgkmcnt(0)
	s_add_u32 s18, s0, 8
	s_mov_b64 s[16:17], 1
	v_mov_b32_e32 v4, 0
	s_addc_u32 s19, s1, 0
	v_mov_b32_e32 v7, v1
.LBB0_2:                                ; =>This Inner Loop Header: Depth=1
	s_load_dwordx2 s[20:21], s[18:19], 0x0
                                        ; implicit-def: $vgpr9_vgpr10
	s_waitcnt lgkmcnt(0)
	v_or_b32_e32 v6, s21, v8
	v_cmp_ne_u64_e32 vcc, 0, v[5:6]
	s_and_saveexec_b64 s[0:1], vcc
	s_xor_b64 s[22:23], exec, s[0:1]
	s_cbranch_execz .LBB0_4
; %bb.3:                                ;   in Loop: Header=BB0_2 Depth=1
	v_cvt_f32_u32_e32 v2, s20
	v_cvt_f32_u32_e32 v6, s21
	s_sub_u32 s0, 0, s20
	s_subb_u32 s1, 0, s21
	v_mac_f32_e32 v2, 0x4f800000, v6
	v_rcp_f32_e32 v2, v2
	v_mul_f32_e32 v2, 0x5f7ffffc, v2
	v_mul_f32_e32 v6, 0x2f800000, v2
	v_trunc_f32_e32 v6, v6
	v_mac_f32_e32 v2, 0xcf800000, v6
	v_cvt_u32_f32_e32 v6, v6
	v_cvt_u32_f32_e32 v2, v2
	v_mul_lo_u32 v9, s0, v6
	v_mul_hi_u32 v10, s0, v2
	v_mul_lo_u32 v12, s1, v2
	v_mul_lo_u32 v11, s0, v2
	v_add_u32_e32 v9, v10, v9
	v_add_u32_e32 v9, v9, v12
	v_mul_hi_u32 v10, v2, v11
	v_mul_lo_u32 v12, v2, v9
	v_mul_hi_u32 v14, v2, v9
	v_mul_hi_u32 v13, v6, v11
	v_mul_lo_u32 v11, v6, v11
	v_mul_hi_u32 v15, v6, v9
	v_add_co_u32_e32 v10, vcc, v10, v12
	v_addc_co_u32_e32 v12, vcc, 0, v14, vcc
	v_mul_lo_u32 v9, v6, v9
	v_add_co_u32_e32 v10, vcc, v10, v11
	v_addc_co_u32_e32 v10, vcc, v12, v13, vcc
	v_addc_co_u32_e32 v11, vcc, 0, v15, vcc
	v_add_co_u32_e32 v9, vcc, v10, v9
	v_addc_co_u32_e32 v10, vcc, 0, v11, vcc
	v_add_co_u32_e32 v2, vcc, v2, v9
	v_addc_co_u32_e32 v6, vcc, v6, v10, vcc
	v_mul_lo_u32 v9, s0, v6
	v_mul_hi_u32 v10, s0, v2
	v_mul_lo_u32 v11, s1, v2
	v_mul_lo_u32 v12, s0, v2
	v_add_u32_e32 v9, v10, v9
	v_add_u32_e32 v9, v9, v11
	v_mul_lo_u32 v13, v2, v9
	v_mul_hi_u32 v14, v2, v12
	v_mul_hi_u32 v15, v2, v9
	;; [unrolled: 1-line block ×3, first 2 shown]
	v_mul_lo_u32 v12, v6, v12
	v_mul_hi_u32 v10, v6, v9
	v_add_co_u32_e32 v13, vcc, v14, v13
	v_addc_co_u32_e32 v14, vcc, 0, v15, vcc
	v_mul_lo_u32 v9, v6, v9
	v_add_co_u32_e32 v12, vcc, v13, v12
	v_addc_co_u32_e32 v11, vcc, v14, v11, vcc
	v_addc_co_u32_e32 v10, vcc, 0, v10, vcc
	v_add_co_u32_e32 v9, vcc, v11, v9
	v_addc_co_u32_e32 v10, vcc, 0, v10, vcc
	v_add_co_u32_e32 v2, vcc, v2, v9
	v_addc_co_u32_e32 v6, vcc, v6, v10, vcc
	v_mad_u64_u32 v[9:10], s[0:1], v7, v6, 0
	v_mul_hi_u32 v11, v7, v2
	v_add_co_u32_e32 v13, vcc, v11, v9
	v_addc_co_u32_e32 v14, vcc, 0, v10, vcc
	v_mad_u64_u32 v[9:10], s[0:1], v8, v2, 0
	v_mad_u64_u32 v[11:12], s[0:1], v8, v6, 0
	v_add_co_u32_e32 v2, vcc, v13, v9
	v_addc_co_u32_e32 v2, vcc, v14, v10, vcc
	v_addc_co_u32_e32 v6, vcc, 0, v12, vcc
	v_add_co_u32_e32 v2, vcc, v2, v11
	v_addc_co_u32_e32 v6, vcc, 0, v6, vcc
	v_mul_lo_u32 v11, s21, v2
	v_mul_lo_u32 v12, s20, v6
	v_mad_u64_u32 v[9:10], s[0:1], s20, v2, 0
	v_add3_u32 v10, v10, v12, v11
	v_sub_u32_e32 v11, v8, v10
	v_mov_b32_e32 v12, s21
	v_sub_co_u32_e32 v9, vcc, v7, v9
	v_subb_co_u32_e64 v11, s[0:1], v11, v12, vcc
	v_subrev_co_u32_e64 v12, s[0:1], s20, v9
	v_subbrev_co_u32_e64 v11, s[0:1], 0, v11, s[0:1]
	v_cmp_le_u32_e64 s[0:1], s21, v11
	v_cndmask_b32_e64 v13, 0, -1, s[0:1]
	v_cmp_le_u32_e64 s[0:1], s20, v12
	v_cndmask_b32_e64 v12, 0, -1, s[0:1]
	v_cmp_eq_u32_e64 s[0:1], s21, v11
	v_cndmask_b32_e64 v11, v13, v12, s[0:1]
	v_add_co_u32_e64 v12, s[0:1], 2, v2
	v_addc_co_u32_e64 v13, s[0:1], 0, v6, s[0:1]
	v_add_co_u32_e64 v14, s[0:1], 1, v2
	v_addc_co_u32_e64 v15, s[0:1], 0, v6, s[0:1]
	v_subb_co_u32_e32 v10, vcc, v8, v10, vcc
	v_cmp_ne_u32_e64 s[0:1], 0, v11
	v_cmp_le_u32_e32 vcc, s21, v10
	v_cndmask_b32_e64 v11, v15, v13, s[0:1]
	v_cndmask_b32_e64 v13, 0, -1, vcc
	v_cmp_le_u32_e32 vcc, s20, v9
	v_cndmask_b32_e64 v9, 0, -1, vcc
	v_cmp_eq_u32_e32 vcc, s21, v10
	v_cndmask_b32_e32 v9, v13, v9, vcc
	v_cmp_ne_u32_e32 vcc, 0, v9
	v_cndmask_b32_e32 v10, v6, v11, vcc
	v_cndmask_b32_e64 v6, v14, v12, s[0:1]
	v_cndmask_b32_e32 v9, v2, v6, vcc
.LBB0_4:                                ;   in Loop: Header=BB0_2 Depth=1
	s_andn2_saveexec_b64 s[0:1], s[22:23]
	s_cbranch_execz .LBB0_6
; %bb.5:                                ;   in Loop: Header=BB0_2 Depth=1
	v_cvt_f32_u32_e32 v2, s20
	s_sub_i32 s22, 0, s20
	v_rcp_iflag_f32_e32 v2, v2
	v_mul_f32_e32 v2, 0x4f7ffffe, v2
	v_cvt_u32_f32_e32 v2, v2
	v_mul_lo_u32 v6, s22, v2
	v_mul_hi_u32 v6, v2, v6
	v_add_u32_e32 v2, v2, v6
	v_mul_hi_u32 v2, v7, v2
	v_mul_lo_u32 v6, v2, s20
	v_add_u32_e32 v9, 1, v2
	v_sub_u32_e32 v6, v7, v6
	v_subrev_u32_e32 v10, s20, v6
	v_cmp_le_u32_e32 vcc, s20, v6
	v_cndmask_b32_e32 v6, v6, v10, vcc
	v_cndmask_b32_e32 v2, v2, v9, vcc
	v_add_u32_e32 v9, 1, v2
	v_cmp_le_u32_e32 vcc, s20, v6
	v_cndmask_b32_e32 v9, v2, v9, vcc
	v_mov_b32_e32 v10, v5
.LBB0_6:                                ;   in Loop: Header=BB0_2 Depth=1
	s_or_b64 exec, exec, s[0:1]
	v_mul_lo_u32 v2, v10, s20
	v_mul_lo_u32 v6, v9, s21
	v_mad_u64_u32 v[11:12], s[0:1], v9, s20, 0
	s_load_dwordx2 s[0:1], s[6:7], 0x0
	s_add_u32 s16, s16, 1
	v_add3_u32 v2, v12, v6, v2
	v_sub_co_u32_e32 v6, vcc, v7, v11
	v_subb_co_u32_e32 v2, vcc, v8, v2, vcc
	s_waitcnt lgkmcnt(0)
	v_mul_lo_u32 v2, s0, v2
	v_mul_lo_u32 v7, s1, v6
	v_mad_u64_u32 v[3:4], s[0:1], s0, v6, v[3:4]
	s_addc_u32 s17, s17, 0
	s_add_u32 s6, s6, 8
	v_add3_u32 v4, v7, v4, v2
	v_mov_b32_e32 v6, s10
	v_mov_b32_e32 v7, s11
	s_addc_u32 s7, s7, 0
	v_cmp_ge_u64_e32 vcc, s[16:17], v[6:7]
	s_add_u32 s18, s18, 8
	s_addc_u32 s19, s19, 0
	s_cbranch_vccnz .LBB0_8
; %bb.7:                                ;   in Loop: Header=BB0_2 Depth=1
	v_mov_b32_e32 v7, v9
	v_mov_b32_e32 v8, v10
	s_branch .LBB0_2
.LBB0_8:
	s_lshl_b64 s[0:1], s[10:11], 3
	s_add_u32 s0, s14, s0
	s_addc_u32 s1, s15, s1
	s_load_dwordx2 s[6:7], s[0:1], 0x0
	s_load_dwordx2 s[10:11], s[4:5], 0x20
                                        ; implicit-def: $vgpr61
                                        ; implicit-def: $vgpr60
	s_waitcnt lgkmcnt(0)
	v_mad_u64_u32 v[2:3], s[0:1], s6, v9, v[3:4]
	s_mov_b32 s0, 0x3e0f83f
	v_mul_hi_u32 v4, v0, s0
	v_mul_lo_u32 v5, s6, v10
	v_mul_lo_u32 v6, s7, v9
	v_cmp_gt_u64_e32 vcc, s[10:11], v[9:10]
	v_cmp_le_u64_e64 s[0:1], s[10:11], v[9:10]
	v_mul_u32_u24_e32 v4, 0x42, v4
	v_add3_u32 v3, v6, v3, v5
	v_sub_u32_e32 v0, v0, v4
	s_and_saveexec_b64 s[4:5], s[0:1]
	s_xor_b64 s[0:1], exec, s[4:5]
; %bb.9:
	v_add_u32_e32 v61, 0x42, v0
	v_add_u32_e32 v60, 0x84, v0
; %bb.10:
	s_or_saveexec_b64 s[4:5], s[0:1]
	v_lshlrev_b64 v[2:3], 3, v[2:3]
                                        ; implicit-def: $vgpr17
                                        ; implicit-def: $vgpr21
                                        ; implicit-def: $vgpr43
                                        ; implicit-def: $vgpr41
                                        ; implicit-def: $vgpr47
                                        ; implicit-def: $vgpr45
                                        ; implicit-def: $vgpr13
                                        ; implicit-def: $vgpr27
                                        ; implicit-def: $vgpr29
                                        ; implicit-def: $vgpr23
                                        ; implicit-def: $vgpr9
                                        ; implicit-def: $vgpr11
                                        ; implicit-def: $vgpr15
                                        ; implicit-def: $vgpr25
                                        ; implicit-def: $vgpr36
                                        ; implicit-def: $vgpr31
                                        ; implicit-def: $vgpr34
                                        ; implicit-def: $vgpr19
	s_xor_b64 exec, exec, s[4:5]
	s_cbranch_execz .LBB0_12
; %bb.11:
	v_mad_u64_u32 v[4:5], s[0:1], s2, v0, 0
	v_add_u32_e32 v9, 0xc6, v0
	v_mov_b32_e32 v8, s13
	v_mad_u64_u32 v[5:6], s[0:1], s3, v0, v[5:6]
	v_mad_u64_u32 v[6:7], s[0:1], s2, v9, 0
	v_add_co_u32_e64 v16, s[0:1], s12, v2
	v_addc_co_u32_e64 v17, s[0:1], v8, v3, s[0:1]
	v_mad_u64_u32 v[7:8], s[0:1], s3, v9, v[7:8]
	v_add_u32_e32 v10, 0x18c, v0
	v_mad_u64_u32 v[8:9], s[0:1], s2, v10, 0
	v_lshlrev_b64 v[4:5], 3, v[4:5]
	v_add_u32_e32 v12, 0x252, v0
	v_add_co_u32_e64 v4, s[0:1], v16, v4
	v_addc_co_u32_e64 v5, s[0:1], v17, v5, s[0:1]
	v_mad_u64_u32 v[9:10], s[0:1], s3, v10, v[9:10]
	v_mad_u64_u32 v[10:11], s[0:1], s2, v12, 0
	v_lshlrev_b64 v[6:7], 3, v[6:7]
	v_add_u32_e32 v14, 0x318, v0
	v_add_co_u32_e64 v6, s[0:1], v16, v6
	v_addc_co_u32_e64 v7, s[0:1], v17, v7, s[0:1]
	v_mad_u64_u32 v[11:12], s[0:1], s3, v12, v[11:12]
	v_mad_u64_u32 v[12:13], s[0:1], s2, v14, 0
	v_lshlrev_b64 v[8:9], 3, v[8:9]
	v_add_u32_e32 v61, 0x42, v0
	v_add_co_u32_e64 v24, s[0:1], v16, v8
	v_addc_co_u32_e64 v25, s[0:1], v17, v9, s[0:1]
	v_lshlrev_b64 v[8:9], 3, v[10:11]
	v_mov_b32_e32 v10, v13
	v_mad_u64_u32 v[10:11], s[0:1], s3, v14, v[10:11]
	v_add_u32_e32 v11, 0x3de, v0
	v_mad_u64_u32 v[14:15], s[0:1], s2, v11, 0
	v_add_co_u32_e64 v30, s[0:1], v16, v8
	v_mov_b32_e32 v13, v10
	v_mov_b32_e32 v10, v15
	v_addc_co_u32_e64 v31, s[0:1], v17, v9, s[0:1]
	v_mad_u64_u32 v[10:11], s[0:1], s3, v11, v[10:11]
	v_lshlrev_b64 v[8:9], 3, v[12:13]
	v_mad_u64_u32 v[11:12], s[0:1], s2, v61, 0
	v_add_co_u32_e64 v35, s[0:1], v16, v8
	v_mov_b32_e32 v15, v10
	v_mov_b32_e32 v10, v12
	v_addc_co_u32_e64 v36, s[0:1], v17, v9, s[0:1]
	v_lshlrev_b64 v[8:9], 3, v[14:15]
	v_mad_u64_u32 v[12:13], s[0:1], s3, v61, v[10:11]
	v_add_u32_e32 v15, 0x108, v0
	v_mad_u64_u32 v[13:14], s[0:1], s2, v15, 0
	v_add_co_u32_e64 v37, s[0:1], v16, v8
	v_mov_b32_e32 v10, v14
	v_addc_co_u32_e64 v38, s[0:1], v17, v9, s[0:1]
	v_lshlrev_b64 v[8:9], 3, v[11:12]
	v_mad_u64_u32 v[10:11], s[0:1], s3, v15, v[10:11]
	v_add_u32_e32 v15, 0x1ce, v0
	v_mad_u64_u32 v[11:12], s[0:1], s2, v15, 0
	v_add_co_u32_e64 v48, s[0:1], v16, v8
	v_mov_b32_e32 v14, v10
	v_mov_b32_e32 v10, v12
	v_addc_co_u32_e64 v49, s[0:1], v17, v9, s[0:1]
	v_lshlrev_b64 v[8:9], 3, v[13:14]
	v_mad_u64_u32 v[12:13], s[0:1], s3, v15, v[10:11]
	v_add_u32_e32 v15, 0x294, v0
	v_mad_u64_u32 v[13:14], s[0:1], s2, v15, 0
	v_add_co_u32_e64 v50, s[0:1], v16, v8
	v_mov_b32_e32 v10, v14
	v_addc_co_u32_e64 v51, s[0:1], v17, v9, s[0:1]
	v_lshlrev_b64 v[8:9], 3, v[11:12]
	v_mad_u64_u32 v[10:11], s[0:1], s3, v15, v[10:11]
	v_add_u32_e32 v15, 0x35a, v0
	;; [unrolled: 15-line block ×5, first 2 shown]
	v_mad_u64_u32 v[11:12], s[0:1], s2, v15, 0
	v_add_co_u32_e64 v66, s[0:1], v16, v8
	v_mov_b32_e32 v14, v10
	v_mov_b32_e32 v10, v12
	v_addc_co_u32_e64 v67, s[0:1], v17, v9, s[0:1]
	v_lshlrev_b64 v[8:9], 3, v[13:14]
	v_mad_u64_u32 v[12:13], s[0:1], s3, v15, v[10:11]
	v_add_u32_e32 v15, 0x462, v0
	v_mad_u64_u32 v[13:14], s[0:1], s2, v15, 0
	v_add_co_u32_e64 v68, s[0:1], v16, v8
	v_mov_b32_e32 v10, v14
	v_addc_co_u32_e64 v69, s[0:1], v17, v9, s[0:1]
	v_lshlrev_b64 v[8:9], 3, v[11:12]
	v_mad_u64_u32 v[10:11], s[0:1], s3, v15, v[10:11]
	v_add_co_u32_e64 v70, s[0:1], v16, v8
	v_mov_b32_e32 v14, v10
	v_addc_co_u32_e64 v71, s[0:1], v17, v9, s[0:1]
	v_lshlrev_b64 v[8:9], 3, v[13:14]
	v_add_co_u32_e64 v72, s[0:1], v16, v8
	v_addc_co_u32_e64 v73, s[0:1], v17, v9, s[0:1]
	global_load_dwordx2 v[16:17], v[4:5], off
	global_load_dwordx2 v[20:21], v[6:7], off
	;; [unrolled: 1-line block ×15, first 2 shown]
                                        ; kill: killed $vgpr66 killed $vgpr67
                                        ; kill: killed $vgpr56 killed $vgpr57
                                        ; kill: killed $vgpr6 killed $vgpr7
                                        ; kill: killed $vgpr50 killed $vgpr51
                                        ; kill: killed $vgpr30 killed $vgpr31
                                        ; kill: killed $vgpr64 killed $vgpr65
                                        ; kill: killed $vgpr54 killed $vgpr55
                                        ; kill: killed $vgpr37 killed $vgpr38
                                        ; kill: killed $vgpr4 killed $vgpr5
                                        ; kill: killed $vgpr58 killed $vgpr59
                                        ; kill: killed $vgpr48 killed $vgpr49
                                        ; kill: killed $vgpr24 killed $vgpr25
                                        ; kill: killed $vgpr62 killed $vgpr63
                                        ; kill: killed $vgpr52 killed $vgpr53
                                        ; kill: killed $vgpr35 killed $vgpr36
	global_load_dwordx2 v[24:25], v[68:69], off
	global_load_dwordx2 v[35:36], v[70:71], off
	global_load_dwordx2 v[30:31], v[72:73], off
.LBB0_12:
	s_or_b64 exec, exec, s[4:5]
	s_mov_b32 s0, 0xaaaaaaab
	v_mul_hi_u32 v4, v1, s0
	s_waitcnt vmcnt(13)
	v_add_f32_e32 v6, v42, v46
	v_add_f32_e32 v5, v16, v42
	v_fmac_f32_e32 v16, -0.5, v6
	v_lshrrev_b32_e32 v4, 1, v4
	v_lshl_add_u32 v4, v4, 1, v4
	v_sub_u32_e32 v1, v1, v4
	v_sub_f32_e32 v4, v43, v47
	v_mov_b32_e32 v7, v16
	v_fmac_f32_e32 v7, 0x3f5db3d7, v4
	v_fmac_f32_e32 v16, 0xbf5db3d7, v4
	s_waitcnt vmcnt(12)
	v_add_f32_e32 v4, v40, v44
	v_add_f32_e32 v6, v20, v40
	v_fmac_f32_e32 v20, -0.5, v4
	v_sub_f32_e32 v32, v41, v45
	v_mov_b32_e32 v4, v20
	v_fmac_f32_e32 v4, 0x3f5db3d7, v32
	v_fmac_f32_e32 v20, 0xbf5db3d7, v32
	v_add_f32_e32 v32, v41, v45
	v_fma_f32 v63, -0.5, v32, v21
	v_sub_f32_e32 v32, v40, v44
	v_mov_b32_e32 v64, v63
	v_mul_u32_u24_e32 v1, 0x4a4, v1
	v_fmac_f32_e32 v64, 0xbf5db3d7, v32
	v_fmac_f32_e32 v63, 0x3f5db3d7, v32
	v_mul_f32_e32 v39, 0.5, v4
	v_mul_f32_e32 v40, -0.5, v20
	v_lshlrev_b32_e32 v62, 2, v1
	v_add_f32_e32 v32, v5, v46
	v_add_f32_e32 v37, v6, v44
	v_fmac_f32_e32 v39, 0x3f5db3d7, v64
	v_fmac_f32_e32 v40, 0x3f5db3d7, v63
	v_mul_u32_u24_e32 v1, 6, v0
	v_add_u32_e32 v44, 0, v62
	v_add_f32_e32 v5, v32, v37
	v_add_f32_e32 v6, v7, v39
	v_sub_f32_e32 v38, v32, v37
	v_add_f32_e32 v37, v16, v40
	v_lshl_add_u32 v66, v1, 2, v44
	ds_write2_b64 v66, v[5:6], v[37:38] offset1:1
	v_sub_f32_e32 v5, v7, v39
	v_sub_f32_e32 v6, v16, v40
	ds_write_b64 v66, v[5:6] offset:16
	s_waitcnt vmcnt(7)
	v_add_f32_e32 v5, v26, v28
	v_add_f32_e32 v1, v12, v26
	v_fmac_f32_e32 v12, -0.5, v5
	v_sub_f32_e32 v5, v27, v29
	v_mov_b32_e32 v7, v12
	s_waitcnt vmcnt(6)
	v_add_f32_e32 v6, v22, v33
	v_fmac_f32_e32 v7, 0x3f5db3d7, v5
	v_fmac_f32_e32 v12, 0xbf5db3d7, v5
	v_add_f32_e32 v5, v33, v18
	v_fmac_f32_e32 v18, -0.5, v6
	v_sub_f32_e32 v6, v34, v23
	v_mov_b32_e32 v16, v18
	v_fmac_f32_e32 v16, 0x3f5db3d7, v6
	v_fmac_f32_e32 v18, 0xbf5db3d7, v6
	v_add_f32_e32 v6, v23, v34
	v_fma_f32 v67, -0.5, v6, v19
	v_sub_f32_e32 v6, v33, v22
	v_mov_b32_e32 v68, v67
	v_fmac_f32_e32 v68, 0xbf5db3d7, v6
	v_fmac_f32_e32 v67, 0x3f5db3d7, v6
	v_add_f32_e32 v1, v1, v28
	v_add_f32_e32 v22, v22, v5
	v_mul_f32_e32 v37, 0.5, v16
	v_mul_f32_e32 v38, -0.5, v18
	v_fmac_f32_e32 v37, 0x3f5db3d7, v68
	v_add_f32_e32 v5, v1, v22
	v_fmac_f32_e32 v38, 0x3f5db3d7, v67
	v_sub_f32_e32 v33, v1, v22
	v_mul_i32_i24_e32 v1, 6, v61
	v_add_f32_e32 v6, v7, v37
	v_add_f32_e32 v32, v12, v38
	v_lshl_add_u32 v22, v1, 2, v44
	ds_write2_b64 v22, v[5:6], v[32:33] offset1:1
	v_sub_f32_e32 v5, v7, v37
	s_waitcnt vmcnt(1)
	v_add_f32_e32 v7, v14, v35
	v_add_f32_e32 v1, v8, v14
	v_fmac_f32_e32 v8, -0.5, v7
	v_sub_f32_e32 v6, v12, v38
	v_sub_f32_e32 v7, v15, v36
	v_mov_b32_e32 v32, v8
	s_waitcnt vmcnt(0)
	v_add_f32_e32 v12, v24, v30
	v_fmac_f32_e32 v32, 0x3f5db3d7, v7
	v_fmac_f32_e32 v8, 0xbf5db3d7, v7
	v_add_f32_e32 v7, v10, v24
	v_fmac_f32_e32 v10, -0.5, v12
	v_sub_f32_e32 v33, v25, v31
	v_mov_b32_e32 v12, v10
	v_fmac_f32_e32 v12, 0x3f5db3d7, v33
	v_fmac_f32_e32 v10, 0xbf5db3d7, v33
	v_add_f32_e32 v33, v25, v31
	v_fma_f32 v69, -0.5, v33, v11
	v_sub_f32_e32 v24, v24, v30
	v_mov_b32_e32 v70, v69
	v_fmac_f32_e32 v70, 0xbf5db3d7, v24
	v_fmac_f32_e32 v69, 0x3f5db3d7, v24
	v_add_f32_e32 v1, v1, v35
	v_add_f32_e32 v7, v7, v30
	v_mul_f32_e32 v24, 0.5, v12
	v_fmac_f32_e32 v24, 0x3f5db3d7, v70
	v_add_f32_e32 v39, v1, v7
	v_mul_f32_e32 v30, -0.5, v10
	v_sub_f32_e32 v38, v1, v7
	v_mul_i32_i24_e32 v1, 6, v60
	v_add_f32_e32 v40, v32, v24
	v_fmac_f32_e32 v30, 0x3f5db3d7, v69
	v_sub_f32_e32 v32, v32, v24
	v_lshl_add_u32 v24, v1, 2, v44
	v_lshlrev_b32_e32 v1, 2, v0
	v_add_f32_e32 v37, v8, v30
	v_sub_f32_e32 v33, v8, v30
	v_add_u32_e32 v44, v44, v1
	v_add3_u32 v30, 0, v1, v62
	ds_write_b64 v22, v[5:6] offset:16
	ds_write2_b64 v24, v[39:40], v[37:38] offset1:1
	ds_write_b64 v24, v[32:33] offset:16
	s_waitcnt lgkmcnt(0)
	s_barrier
	ds_read_b32 v65, v44
	v_add_u32_e32 v71, 0x400, v30
	v_add_u32_e32 v72, 0x800, v30
	;; [unrolled: 1-line block ×4, first 2 shown]
	ds_read2_b32 v[58:59], v30 offset0:108 offset1:216
	ds_read2_b32 v[56:57], v71 offset0:68 offset1:176
	;; [unrolled: 1-line block ×5, first 2 shown]
	v_cmp_gt_u32_e64 s[0:1], 42, v0
	v_lshlrev_b32_e32 v1, 2, v61
                                        ; implicit-def: $vgpr8
                                        ; implicit-def: $vgpr49
	s_and_saveexec_b64 s[4:5], s[0:1]
	s_cbranch_execz .LBB0_14
; %bb.13:
	v_add3_u32 v5, 0, v1, v62
	ds_read_b32 v6, v5
	v_add_u32_e32 v5, 0x200, v30
	ds_read2_b32 v[39:40], v5 offset0:46 offset1:154
	ds_read2_b32 v[37:38], v71 offset0:134 offset1:242
	;; [unrolled: 1-line block ×3, first 2 shown]
	v_add_u32_e32 v5, 0xc00, v30
	ds_read2_b32 v[48:49], v5 offset0:54 offset1:162
	v_add_u32_e32 v5, 0x1000, v30
	ds_read2_b32 v[7:8], v5 offset0:14 offset1:122
.LBB0_14:
	s_or_b64 exec, exec, s[4:5]
	v_add_f32_e32 v5, v17, v43
	v_add_f32_e32 v43, v43, v47
	v_fmac_f32_e32 v17, -0.5, v43
	v_add_f32_e32 v21, v21, v41
	v_add_f32_e32 v5, v5, v47
	v_sub_f32_e32 v42, v42, v46
	v_mov_b32_e32 v43, v17
	v_add_f32_e32 v21, v21, v45
	v_mul_f32_e32 v4, 0xbf5db3d7, v4
	v_fmac_f32_e32 v43, 0xbf5db3d7, v42
	v_add_f32_e32 v41, v5, v21
	v_fmac_f32_e32 v4, 0.5, v64
	v_sub_f32_e32 v21, v5, v21
	v_add_f32_e32 v5, v27, v29
	v_fmac_f32_e32 v17, 0x3f5db3d7, v42
	v_add_f32_e32 v42, v43, v4
	v_sub_f32_e32 v45, v43, v4
	v_add_f32_e32 v4, v13, v27
	v_fmac_f32_e32 v13, -0.5, v5
	v_sub_f32_e32 v5, v26, v28
	v_mov_b32_e32 v28, v13
	v_mul_f32_e32 v46, -0.5, v63
	v_fmac_f32_e32 v28, 0xbf5db3d7, v5
	v_fmac_f32_e32 v13, 0x3f5db3d7, v5
	v_add_f32_e32 v5, v34, v19
	v_mul_f32_e32 v19, -0.5, v67
	v_fmac_f32_e32 v46, 0xbf5db3d7, v20
	v_add_f32_e32 v4, v4, v29
	v_add_f32_e32 v5, v23, v5
	v_fmac_f32_e32 v19, 0xbf5db3d7, v18
	v_add_f32_e32 v20, v17, v46
	v_sub_f32_e32 v46, v17, v46
	v_add_f32_e32 v26, v4, v5
	v_add_f32_e32 v17, v13, v19
	v_sub_f32_e32 v18, v4, v5
	v_sub_f32_e32 v5, v13, v19
	v_add_f32_e32 v13, v9, v15
	v_add_f32_e32 v15, v15, v36
	v_mul_f32_e32 v16, 0xbf5db3d7, v16
	v_fmac_f32_e32 v9, -0.5, v15
	v_fmac_f32_e32 v16, 0.5, v68
	v_sub_f32_e32 v14, v14, v35
	v_mov_b32_e32 v19, v9
	v_add_f32_e32 v11, v11, v25
	v_mul_f32_e32 v23, 0xbf5db3d7, v12
	v_mul_f32_e32 v25, -0.5, v69
	v_add_f32_e32 v27, v28, v16
	v_add_f32_e32 v13, v13, v36
	v_fmac_f32_e32 v19, 0xbf5db3d7, v14
	v_fmac_f32_e32 v9, 0x3f5db3d7, v14
	v_add_f32_e32 v14, v11, v31
	v_fmac_f32_e32 v23, 0.5, v70
	v_fmac_f32_e32 v25, 0xbf5db3d7, v10
	v_sub_f32_e32 v4, v28, v16
	v_add_f32_e32 v11, v13, v14
	v_add_f32_e32 v12, v19, v23
	;; [unrolled: 1-line block ×3, first 2 shown]
	v_sub_f32_e32 v16, v13, v14
	v_sub_f32_e32 v13, v19, v23
	;; [unrolled: 1-line block ×3, first 2 shown]
	s_waitcnt lgkmcnt(0)
	s_barrier
	ds_write2_b64 v66, v[41:42], v[20:21] offset1:1
	ds_write_b64 v66, v[45:46] offset:16
	ds_write2_b64 v22, v[26:27], v[17:18] offset1:1
	ds_write_b64 v22, v[4:5] offset:16
	;; [unrolled: 2-line block ×3, first 2 shown]
	s_waitcnt lgkmcnt(0)
	s_barrier
	ds_read_b32 v31, v44
	ds_read2_b32 v[27:28], v30 offset0:108 offset1:216
	ds_read2_b32 v[25:26], v71 offset0:68 offset1:176
	;; [unrolled: 1-line block ×5, first 2 shown]
                                        ; implicit-def: $vgpr10
                                        ; implicit-def: $vgpr18
	s_and_saveexec_b64 s[4:5], s[0:1]
	s_cbranch_execz .LBB0_16
; %bb.15:
	v_add3_u32 v4, 0, v1, v62
	ds_read_b32 v5, v4
	v_add_u32_e32 v4, 0x200, v30
	ds_read2_b32 v[11:12], v4 offset0:46 offset1:154
	v_add_u32_e32 v4, 0x400, v30
	ds_read2_b32 v[15:16], v4 offset0:134 offset1:242
	;; [unrolled: 2-line block ×5, first 2 shown]
.LBB0_16:
	s_or_b64 exec, exec, s[4:5]
	s_movk_i32 s4, 0xab
	v_mul_lo_u16_sdwa v4, v0, s4 dst_sel:DWORD dst_unused:UNUSED_PAD src0_sel:BYTE_0 src1_sel:DWORD
	v_lshrrev_b16_e32 v66, 10, v4
	v_mul_lo_u16_e32 v4, 6, v66
	v_sub_u16_e32 v67, v0, v4
	v_mov_b32_e32 v29, 10
	v_mul_u32_u24_sdwa v4, v67, v29 dst_sel:DWORD dst_unused:UNUSED_PAD src0_sel:BYTE_0 src1_sel:DWORD
	v_lshlrev_b32_e32 v4, 3, v4
	global_load_dwordx4 v[68:71], v4, s[8:9] offset:48
	global_load_dwordx4 v[72:75], v4, s[8:9] offset:32
	global_load_dwordx4 v[76:79], v4, s[8:9] offset:16
	global_load_dwordx4 v[80:83], v4, s[8:9]
	s_mov_b32 s10, 0x3f575c64
	s_mov_b32 s6, 0x3ed4b147
	;; [unrolled: 1-line block ×5, first 2 shown]
	s_movk_i32 s15, 0x108
	s_waitcnt vmcnt(3)
	v_mul_f32_e32 v45, v52, v69
	s_waitcnt lgkmcnt(1)
	v_fmac_f32_e32 v45, v21, v68
	s_waitcnt vmcnt(1)
	v_mul_f32_e32 v47, v56, v77
	s_waitcnt vmcnt(0)
	v_mul_f32_e32 v64, v58, v81
	v_mul_f32_e32 v34, v27, v81
	v_fmac_f32_e32 v64, v27, v80
	v_mul_f32_e32 v27, v28, v83
	v_fma_f32 v63, v58, v80, -v34
	v_fma_f32 v58, v59, v82, -v27
	v_mul_f32_e32 v59, v59, v83
	v_fmac_f32_e32 v59, v28, v82
	v_mul_f32_e32 v27, v25, v77
	v_fmac_f32_e32 v47, v25, v76
	v_mul_f32_e32 v25, v26, v79
	v_mul_f32_e32 v28, v54, v73
	v_fma_f32 v41, v57, v78, -v25
	v_mul_f32_e32 v25, v23, v73
	v_fmac_f32_e32 v28, v23, v72
	v_mul_f32_e32 v23, v24, v75
	v_fma_f32 v34, v55, v74, -v23
	v_mul_f32_e32 v23, v21, v69
	v_mul_f32_e32 v21, v22, v71
	;; [unrolled: 1-line block ×3, first 2 shown]
	v_fma_f32 v43, v52, v68, -v23
	v_fma_f32 v52, v53, v70, -v21
	v_mul_f32_e32 v53, v53, v71
	v_fmac_f32_e32 v35, v24, v74
	v_fmac_f32_e32 v53, v22, v70
	global_load_dwordx4 v[21:24], v4, s[8:9] offset:64
	v_mul_f32_e32 v42, v57, v79
	v_fmac_f32_e32 v42, v26, v78
	v_fma_f32 v26, v54, v72, -v25
	v_fma_f32 v46, v56, v76, -v27
	s_waitcnt vmcnt(0) lgkmcnt(0)
	v_mul_f32_e32 v4, v19, v22
	v_fma_f32 v54, v50, v21, -v4
	v_mul_f32_e32 v55, v50, v22
	v_mul_f32_e32 v4, v20, v24
	v_fmac_f32_e32 v55, v19, v21
	v_fma_f32 v19, v51, v23, -v4
	v_mul_lo_u16_sdwa v4, v61, s4 dst_sel:DWORD dst_unused:UNUSED_PAD src0_sel:BYTE_0 src1_sel:DWORD
	v_mul_f32_e32 v56, v51, v24
	v_lshrrev_b16_e32 v4, 10, v4
	v_fmac_f32_e32 v56, v20, v23
	v_mul_lo_u16_e32 v20, 6, v4
	v_sub_u16_e32 v20, v61, v20
	v_mul_u32_u24_sdwa v21, v20, v29 dst_sel:DWORD dst_unused:UNUSED_PAD src0_sel:BYTE_0 src1_sel:DWORD
	v_lshlrev_b32_e32 v57, 3, v21
	global_load_dwordx4 v[68:71], v57, s[8:9] offset:48
	global_load_dwordx4 v[72:75], v57, s[8:9] offset:32
	;; [unrolled: 1-line block ×3, first 2 shown]
	global_load_dwordx4 v[76:79], v57, s[8:9]
	s_waitcnt vmcnt(1)
	v_mul_f32_e32 v27, v38, v24
	s_waitcnt vmcnt(0)
	v_mul_f32_e32 v51, v39, v77
	v_mul_f32_e32 v25, v11, v77
	v_fmac_f32_e32 v51, v11, v76
	v_mul_f32_e32 v11, v12, v79
	v_fma_f32 v50, v39, v76, -v25
	v_fma_f32 v39, v40, v78, -v11
	v_mul_f32_e32 v11, v15, v22
	v_fma_f32 v36, v37, v21, -v11
	v_mul_f32_e32 v11, v16, v24
	v_mul_f32_e32 v37, v37, v22
	v_fma_f32 v25, v38, v23, -v11
	v_mul_f32_e32 v11, v13, v73
	v_fmac_f32_e32 v37, v15, v21
	v_fma_f32 v21, v32, v72, -v11
	v_mul_f32_e32 v11, v14, v75
	v_fmac_f32_e32 v27, v16, v23
	v_fma_f32 v23, v33, v74, -v11
	v_mul_f32_e32 v11, v17, v69
	v_mul_f32_e32 v40, v40, v79
	;; [unrolled: 1-line block ×4, first 2 shown]
	v_fma_f32 v29, v48, v68, -v11
	v_mul_f32_e32 v11, v18, v71
	v_fmac_f32_e32 v40, v12, v78
	v_fmac_f32_e32 v22, v13, v72
	;; [unrolled: 1-line block ×3, first 2 shown]
	v_fma_f32 v33, v49, v70, -v11
	global_load_dwordx4 v[11:14], v57, s[8:9] offset:64
	v_mul_f32_e32 v32, v48, v69
	v_mul_f32_e32 v38, v49, v71
	v_fmac_f32_e32 v32, v17, v68
	v_fmac_f32_e32 v38, v18, v70
	s_waitcnt vmcnt(0)
	s_barrier
	v_mul_f32_e32 v15, v9, v12
	v_fma_f32 v48, v7, v11, -v15
	v_mul_f32_e32 v49, v7, v12
	v_mul_f32_e32 v7, v10, v14
	v_fma_f32 v57, v8, v13, -v7
	v_add_f32_e32 v7, v65, v63
	v_add_f32_e32 v7, v7, v58
	;; [unrolled: 1-line block ×8, first 2 shown]
	v_fmac_f32_e32 v49, v9, v11
	v_mul_f32_e32 v68, v8, v14
	v_add_f32_e32 v7, v7, v54
	v_sub_f32_e32 v9, v64, v56
	v_fmac_f32_e32 v68, v10, v13
	v_add_f32_e32 v8, v7, v19
	v_add_f32_e32 v7, v63, v19
	v_mul_f32_e32 v10, 0xbf0a6770, v9
	v_mul_f32_e32 v12, 0xbf68dda4, v9
	;; [unrolled: 1-line block ×5, first 2 shown]
	v_fma_f32 v11, v7, s10, -v10
	v_fmac_f32_e32 v10, 0x3f575c64, v7
	v_fma_f32 v13, v7, s6, -v12
	v_fmac_f32_e32 v12, 0x3ed4b147, v7
	;; [unrolled: 2-line block ×5, first 2 shown]
	v_add_f32_e32 v11, v65, v11
	v_add_f32_e32 v10, v65, v10
	;; [unrolled: 1-line block ×10, first 2 shown]
	v_sub_f32_e32 v65, v59, v55
	v_add_f32_e32 v9, v58, v54
	v_mul_f32_e32 v69, 0xbf68dda4, v65
	v_fma_f32 v70, v9, s6, -v69
	v_fmac_f32_e32 v69, 0x3ed4b147, v9
	v_add_f32_e32 v10, v69, v10
	v_mul_f32_e32 v69, 0xbf4178ce, v65
	v_add_f32_e32 v11, v70, v11
	v_fma_f32 v70, v9, s11, -v69
	v_fmac_f32_e32 v69, 0xbf27a4f4, v9
	v_add_f32_e32 v12, v69, v12
	v_mul_f32_e32 v69, 0x3e903f40, v65
	v_add_f32_e32 v13, v70, v13
	v_fma_f32 v70, v9, s14, -v69
	v_fmac_f32_e32 v69, 0xbf75a155, v9
	v_add_f32_e32 v14, v69, v14
	v_mul_f32_e32 v69, 0x3f7d64f0, v65
	v_add_f32_e32 v15, v70, v15
	v_fma_f32 v70, v9, s7, -v69
	v_fmac_f32_e32 v69, 0xbe11bafb, v9
	v_mul_f32_e32 v65, 0x3f0a6770, v65
	v_add_f32_e32 v16, v69, v16
	v_fma_f32 v69, v9, s10, -v65
	v_fmac_f32_e32 v65, 0x3f575c64, v9
	v_add_f32_e32 v7, v65, v7
	v_sub_f32_e32 v65, v47, v53
	v_add_f32_e32 v18, v69, v18
	v_add_f32_e32 v9, v46, v52
	v_mul_f32_e32 v69, 0xbf7d64f0, v65
	v_add_f32_e32 v17, v70, v17
	v_fma_f32 v70, v9, s7, -v69
	v_fmac_f32_e32 v69, 0xbe11bafb, v9
	v_add_f32_e32 v10, v69, v10
	v_mul_f32_e32 v69, 0x3e903f40, v65
	v_add_f32_e32 v11, v70, v11
	v_fma_f32 v70, v9, s14, -v69
	v_fmac_f32_e32 v69, 0xbf75a155, v9
	v_add_f32_e32 v12, v69, v12
	v_mul_f32_e32 v69, 0x3f68dda4, v65
	v_add_f32_e32 v13, v70, v13
	v_fma_f32 v70, v9, s6, -v69
	v_fmac_f32_e32 v69, 0x3ed4b147, v9
	v_add_f32_e32 v14, v69, v14
	v_mul_f32_e32 v69, 0xbf0a6770, v65
	v_add_f32_e32 v15, v70, v15
	v_fma_f32 v70, v9, s10, -v69
	v_fmac_f32_e32 v69, 0x3f575c64, v9
	v_mul_f32_e32 v65, 0xbf4178ce, v65
	v_add_f32_e32 v16, v69, v16
	v_fma_f32 v69, v9, s11, -v65
	v_fmac_f32_e32 v65, 0xbf27a4f4, v9
	v_add_f32_e32 v7, v65, v7
	v_sub_f32_e32 v65, v42, v45
	v_add_f32_e32 v18, v69, v18
	v_add_f32_e32 v9, v41, v43
	v_mul_f32_e32 v69, 0xbf4178ce, v65
	v_add_f32_e32 v17, v70, v17
	;; [unrolled: 27-line block ×3, first 2 shown]
	v_fma_f32 v70, v9, s14, -v69
	v_fmac_f32_e32 v69, 0xbf75a155, v9
	v_add_f32_e32 v10, v69, v10
	v_mul_f32_e32 v69, 0x3f0a6770, v65
	v_add_f32_e32 v11, v70, v11
	v_fma_f32 v70, v9, s10, -v69
	v_fmac_f32_e32 v69, 0x3f575c64, v9
	v_add_f32_e32 v12, v69, v12
	v_mul_f32_e32 v69, 0xbf4178ce, v65
	v_add_f32_e32 v13, v70, v13
	v_fma_f32 v70, v9, s11, -v69
	v_fmac_f32_e32 v69, 0xbf27a4f4, v9
	v_add_f32_e32 v14, v69, v14
	v_mul_f32_e32 v69, 0x3f68dda4, v65
	v_add_f32_e32 v15, v70, v15
	v_fma_f32 v70, v9, s6, -v69
	v_fmac_f32_e32 v69, 0x3ed4b147, v9
	v_mul_f32_e32 v65, 0xbf7d64f0, v65
	v_add_f32_e32 v16, v69, v16
	v_fma_f32 v69, v9, s7, -v65
	v_fmac_f32_e32 v65, 0xbe11bafb, v9
	v_add_f32_e32 v9, v65, v7
	v_mov_b32_e32 v7, 2
	v_mad_u32_u24 v65, v66, s15, 0
	v_lshlrev_b32_sdwa v66, v7, v67 dst_sel:DWORD dst_unused:UNUSED_PAD src0_sel:DWORD src1_sel:BYTE_0
	v_add3_u32 v65, v65, v66, v62
	v_add_f32_e32 v17, v70, v17
	v_add_f32_e32 v18, v69, v18
	ds_write2_b32 v65, v8, v11 offset1:6
	ds_write2_b32 v65, v13, v15 offset0:12 offset1:18
	ds_write2_b32 v65, v17, v18 offset0:24 offset1:30
	;; [unrolled: 1-line block ×4, first 2 shown]
	ds_write_b32 v65, v10 offset:240
	s_and_saveexec_b64 s[4:5], s[0:1]
	s_cbranch_execz .LBB0_18
; %bb.17:
	v_sub_f32_e32 v9, v51, v68
	v_mul_f32_e32 v10, 0xbe903f40, v9
	v_sub_f32_e32 v13, v40, v49
	v_add_f32_e32 v8, v50, v57
	v_mov_b32_e32 v11, v10
	v_mul_f32_e32 v14, 0x3f0a6770, v13
	v_fmac_f32_e32 v11, 0xbf75a155, v8
	v_add_f32_e32 v12, v39, v48
	v_mov_b32_e32 v15, v14
	v_sub_f32_e32 v16, v37, v38
	v_add_f32_e32 v11, v6, v11
	v_fmac_f32_e32 v15, 0x3f575c64, v12
	v_mul_f32_e32 v17, 0xbf4178ce, v16
	v_add_f32_e32 v11, v15, v11
	v_add_f32_e32 v15, v36, v33
	v_mov_b32_e32 v18, v17
	v_sub_f32_e32 v66, v27, v32
	v_fma_f32 v10, v8, s14, -v10
	v_fmac_f32_e32 v18, 0xbf27a4f4, v15
	v_mul_f32_e32 v67, 0x3f68dda4, v66
	v_add_f32_e32 v10, v6, v10
	v_fma_f32 v14, v12, s10, -v14
	v_add_f32_e32 v11, v18, v11
	v_add_f32_e32 v18, v25, v29
	v_mov_b32_e32 v69, v67
	v_add_f32_e32 v10, v14, v10
	v_fma_f32 v14, v15, s11, -v17
	v_fmac_f32_e32 v69, 0x3ed4b147, v18
	v_sub_f32_e32 v70, v22, v24
	v_add_f32_e32 v10, v14, v10
	v_fma_f32 v14, v18, s6, -v67
	v_add_f32_e32 v11, v69, v11
	v_add_f32_e32 v69, v21, v23
	v_mul_f32_e32 v71, 0xbf7d64f0, v70
	v_add_f32_e32 v10, v14, v10
	v_mul_f32_e32 v14, 0xbf4178ce, v9
	v_fma_f32 v72, v69, s7, -v71
	v_fmac_f32_e32 v71, 0xbe11bafb, v69
	v_mov_b32_e32 v17, v14
	v_mul_f32_e32 v67, 0x3f7d64f0, v13
	v_add_f32_e32 v11, v71, v11
	v_fmac_f32_e32 v17, 0xbf27a4f4, v8
	v_mov_b32_e32 v71, v67
	v_add_f32_e32 v17, v6, v17
	v_fmac_f32_e32 v71, 0xbe11bafb, v12
	v_add_f32_e32 v17, v71, v17
	v_mul_f32_e32 v71, 0xbf0a6770, v16
	v_add_f32_e32 v10, v72, v10
	v_mov_b32_e32 v72, v71
	v_fmac_f32_e32 v72, 0x3f575c64, v15
	v_add_f32_e32 v17, v72, v17
	v_mul_f32_e32 v72, 0xbe903f40, v66
	v_fma_f32 v14, v8, s11, -v14
	v_fma_f32 v73, v18, s14, -v72
	v_fmac_f32_e32 v72, 0xbf75a155, v18
	v_add_f32_e32 v14, v6, v14
	v_fma_f32 v67, v12, s7, -v67
	v_add_f32_e32 v17, v72, v17
	v_mul_f32_e32 v72, 0x3f68dda4, v70
	v_add_f32_e32 v14, v67, v14
	v_fma_f32 v67, v15, s10, -v71
	v_fma_f32 v74, v69, s6, -v72
	v_fmac_f32_e32 v72, 0x3ed4b147, v69
	v_add_f32_e32 v14, v67, v14
	v_mul_f32_e32 v67, 0xbf7d64f0, v9
	v_add_f32_e32 v17, v72, v17
	v_mov_b32_e32 v71, v67
	v_mul_f32_e32 v72, 0x3e903f40, v13
	v_add_f32_e32 v14, v73, v14
	v_fmac_f32_e32 v71, 0xbe11bafb, v8
	v_mov_b32_e32 v73, v72
	v_add_f32_e32 v71, v6, v71
	v_fmac_f32_e32 v73, 0xbf75a155, v12
	v_add_f32_e32 v71, v73, v71
	v_mul_f32_e32 v73, 0x3f68dda4, v16
	v_add_f32_e32 v14, v74, v14
	v_mov_b32_e32 v74, v73
	v_fmac_f32_e32 v74, 0x3ed4b147, v15
	v_add_f32_e32 v71, v74, v71
	v_mul_f32_e32 v74, 0xbf0a6770, v66
	v_fma_f32 v67, v8, s7, -v67
	v_fma_f32 v75, v18, s10, -v74
	v_fmac_f32_e32 v74, 0x3f575c64, v18
	v_add_f32_e32 v67, v6, v67
	v_fma_f32 v72, v12, s14, -v72
	v_add_f32_e32 v71, v74, v71
	v_mul_f32_e32 v74, 0xbf4178ce, v70
	v_add_f32_e32 v67, v72, v67
	v_fma_f32 v72, v15, s6, -v73
	v_fma_f32 v76, v69, s11, -v74
	v_fmac_f32_e32 v74, 0xbf27a4f4, v69
	v_add_f32_e32 v67, v72, v67
	v_mul_f32_e32 v72, 0xbf68dda4, v9
	v_add_f32_e32 v71, v74, v71
	v_mov_b32_e32 v73, v72
	v_mul_f32_e32 v74, 0xbf4178ce, v13
	v_add_f32_e32 v67, v75, v67
	v_fmac_f32_e32 v73, 0x3ed4b147, v8
	v_mov_b32_e32 v75, v74
	v_add_f32_e32 v73, v6, v73
	v_fmac_f32_e32 v75, 0xbf27a4f4, v12
	v_fma_f32 v72, v8, s6, -v72
	v_add_f32_e32 v73, v75, v73
	v_mul_f32_e32 v75, 0x3e903f40, v16
	v_add_f32_e32 v72, v6, v72
	v_fma_f32 v74, v12, s11, -v74
	v_add_f32_e32 v72, v74, v72
	v_fma_f32 v74, v15, s14, -v75
	v_mul_f32_e32 v9, 0xbf0a6770, v9
	v_add_f32_e32 v72, v74, v72
	v_mov_b32_e32 v74, v9
	v_fmac_f32_e32 v74, 0x3f575c64, v8
	v_fma_f32 v8, v8, s10, -v9
	v_add_f32_e32 v74, v6, v74
	v_add_f32_e32 v8, v6, v8
	;; [unrolled: 1-line block ×3, first 2 shown]
	v_mul_f32_e32 v13, 0xbf68dda4, v13
	v_add_f32_e32 v6, v6, v39
	v_add_f32_e32 v67, v76, v67
	v_mov_b32_e32 v76, v75
	v_mov_b32_e32 v75, v13
	v_add_f32_e32 v6, v6, v36
	v_fmac_f32_e32 v76, 0xbf75a155, v15
	v_fmac_f32_e32 v75, 0x3ed4b147, v12
	v_mul_f32_e32 v16, 0xbf7d64f0, v16
	v_add_f32_e32 v6, v6, v25
	v_add_f32_e32 v73, v76, v73
	v_mul_f32_e32 v76, 0x3f7d64f0, v66
	v_add_f32_e32 v74, v75, v74
	v_mov_b32_e32 v75, v16
	v_fma_f32 v9, v12, s6, -v13
	v_add_f32_e32 v6, v6, v21
	v_fma_f32 v77, v18, s7, -v76
	v_fmac_f32_e32 v76, 0xbe11bafb, v18
	v_fmac_f32_e32 v75, 0xbe11bafb, v15
	v_mul_f32_e32 v66, 0xbf4178ce, v66
	v_add_f32_e32 v8, v9, v8
	v_fma_f32 v9, v15, s7, -v16
	v_add_f32_e32 v6, v6, v23
	v_add_f32_e32 v73, v76, v73
	v_mul_f32_e32 v76, 0x3f0a6770, v70
	v_add_f32_e32 v74, v75, v74
	v_mov_b32_e32 v75, v66
	v_mul_f32_e32 v70, 0xbe903f40, v70
	v_add_f32_e32 v8, v9, v8
	v_fma_f32 v9, v18, s11, -v66
	v_add_f32_e32 v6, v6, v29
	v_fmac_f32_e32 v75, 0xbf27a4f4, v18
	v_add_f32_e32 v8, v9, v8
	v_fma_f32 v9, v69, s14, -v70
	v_add_f32_e32 v6, v6, v33
	v_add_f32_e32 v74, v75, v74
	v_mov_b32_e32 v75, v70
	v_add_f32_e32 v8, v9, v8
	v_add_f32_e32 v6, v6, v48
	v_mad_u32_u24 v9, v4, s15, 0
	v_lshlrev_b32_sdwa v7, v7, v20 dst_sel:DWORD dst_unused:UNUSED_PAD src0_sel:DWORD src1_sel:BYTE_0
	v_fma_f32 v78, v69, s10, -v76
	v_fmac_f32_e32 v76, 0x3f575c64, v69
	v_add_f32_e32 v72, v77, v72
	v_fmac_f32_e32 v75, 0xbf75a155, v69
	v_add_f32_e32 v6, v6, v57
	v_add3_u32 v7, v9, v7, v62
	v_add_f32_e32 v73, v76, v73
	v_add_f32_e32 v72, v78, v72
	;; [unrolled: 1-line block ×3, first 2 shown]
	ds_write2_b32 v7, v6, v8 offset1:6
	ds_write2_b32 v7, v72, v67 offset0:12 offset1:18
	ds_write2_b32 v7, v14, v10 offset0:24 offset1:30
	;; [unrolled: 1-line block ×4, first 2 shown]
	ds_write_b32 v7, v74 offset:240
.LBB0_18:
	s_or_b64 exec, exec, s[4:5]
	v_add_f32_e32 v6, v31, v64
	v_add_f32_e32 v6, v6, v59
	;; [unrolled: 1-line block ×8, first 2 shown]
	v_sub_f32_e32 v7, v63, v19
	v_add_f32_e32 v6, v6, v55
	v_mul_f32_e32 v8, 0xbf0a6770, v7
	v_mul_f32_e32 v10, 0xbf68dda4, v7
	;; [unrolled: 1-line block ×5, first 2 shown]
	v_add_f32_e32 v66, v6, v56
	v_add_f32_e32 v6, v64, v56
	v_mov_b32_e32 v9, v8
	v_mov_b32_e32 v11, v10
	;; [unrolled: 1-line block ×5, first 2 shown]
	v_sub_f32_e32 v17, v58, v54
	v_fmac_f32_e32 v9, 0x3f575c64, v6
	v_fma_f32 v8, v6, s10, -v8
	v_fmac_f32_e32 v11, 0x3ed4b147, v6
	v_fma_f32 v10, v6, s6, -v10
	;; [unrolled: 2-line block ×5, first 2 shown]
	v_add_f32_e32 v7, v59, v55
	v_mul_f32_e32 v18, 0xbf68dda4, v17
	v_add_f32_e32 v8, v31, v8
	v_mov_b32_e32 v19, v18
	v_fma_f32 v18, v7, s6, -v18
	v_add_f32_e32 v9, v31, v9
	v_fmac_f32_e32 v19, 0x3ed4b147, v7
	v_add_f32_e32 v8, v18, v8
	v_mul_f32_e32 v18, 0xbf4178ce, v17
	v_add_f32_e32 v10, v31, v10
	v_add_f32_e32 v9, v19, v9
	v_mov_b32_e32 v19, v18
	v_fma_f32 v18, v7, s11, -v18
	v_add_f32_e32 v11, v31, v11
	v_fmac_f32_e32 v19, 0xbf27a4f4, v7
	v_add_f32_e32 v10, v18, v10
	v_mul_f32_e32 v18, 0x3e903f40, v17
	v_add_f32_e32 v12, v31, v12
	;; [unrolled: 8-line block ×3, first 2 shown]
	v_add_f32_e32 v13, v19, v13
	v_mov_b32_e32 v19, v18
	v_fma_f32 v18, v7, s7, -v18
	v_mul_f32_e32 v17, 0x3f0a6770, v17
	v_add_f32_e32 v14, v18, v14
	v_mov_b32_e32 v18, v17
	v_add_f32_e32 v16, v31, v16
	v_add_f32_e32 v6, v31, v6
	v_fmac_f32_e32 v19, 0xbe11bafb, v7
	v_fmac_f32_e32 v18, 0x3f575c64, v7
	v_fma_f32 v7, v7, s10, -v17
	v_sub_f32_e32 v17, v46, v52
	v_add_f32_e32 v15, v31, v15
	v_add_f32_e32 v16, v18, v16
	;; [unrolled: 1-line block ×4, first 2 shown]
	v_mul_f32_e32 v18, 0xbf7d64f0, v17
	v_add_f32_e32 v15, v19, v15
	v_mov_b32_e32 v19, v18
	v_fma_f32 v18, v7, s7, -v18
	v_fmac_f32_e32 v19, 0xbe11bafb, v7
	v_add_f32_e32 v8, v18, v8
	v_mul_f32_e32 v18, 0x3e903f40, v17
	v_add_f32_e32 v9, v19, v9
	v_mov_b32_e32 v19, v18
	v_fma_f32 v18, v7, s14, -v18
	v_fmac_f32_e32 v19, 0xbf75a155, v7
	v_add_f32_e32 v10, v18, v10
	;; [unrolled: 6-line block ×3, first 2 shown]
	v_mul_f32_e32 v18, 0xbf0a6770, v17
	v_add_f32_e32 v13, v19, v13
	v_mov_b32_e32 v19, v18
	v_fma_f32 v18, v7, s10, -v18
	v_mul_f32_e32 v17, 0xbf4178ce, v17
	v_add_f32_e32 v14, v18, v14
	v_mov_b32_e32 v18, v17
	v_fmac_f32_e32 v19, 0x3f575c64, v7
	v_fmac_f32_e32 v18, 0xbf27a4f4, v7
	v_fma_f32 v7, v7, s11, -v17
	v_sub_f32_e32 v17, v41, v43
	v_add_f32_e32 v16, v18, v16
	v_add_f32_e32 v6, v7, v6
	;; [unrolled: 1-line block ×3, first 2 shown]
	v_mul_f32_e32 v18, 0xbf4178ce, v17
	v_add_f32_e32 v15, v19, v15
	v_mov_b32_e32 v19, v18
	v_fma_f32 v18, v7, s11, -v18
	v_fmac_f32_e32 v19, 0xbf27a4f4, v7
	v_add_f32_e32 v8, v18, v8
	v_mul_f32_e32 v18, 0x3f7d64f0, v17
	v_add_f32_e32 v9, v19, v9
	v_mov_b32_e32 v19, v18
	v_fma_f32 v18, v7, s7, -v18
	v_fmac_f32_e32 v19, 0xbe11bafb, v7
	v_add_f32_e32 v10, v18, v10
	v_mul_f32_e32 v18, 0xbf0a6770, v17
	v_add_f32_e32 v11, v19, v11
	v_mov_b32_e32 v19, v18
	v_fma_f32 v18, v7, s10, -v18
	v_fmac_f32_e32 v19, 0x3f575c64, v7
	v_add_f32_e32 v12, v18, v12
	v_mul_f32_e32 v18, 0xbe903f40, v17
	v_add_f32_e32 v13, v19, v13
	v_mov_b32_e32 v19, v18
	v_fma_f32 v18, v7, s14, -v18
	v_mul_f32_e32 v17, 0x3f68dda4, v17
	v_add_f32_e32 v14, v18, v14
	v_mov_b32_e32 v18, v17
	v_fmac_f32_e32 v19, 0xbf75a155, v7
	v_fmac_f32_e32 v18, 0x3ed4b147, v7
	v_fma_f32 v7, v7, s6, -v17
	v_sub_f32_e32 v17, v26, v34
	v_add_f32_e32 v16, v18, v16
	v_mul_f32_e32 v18, 0xbe903f40, v17
	v_add_f32_e32 v15, v19, v15
	v_add_f32_e32 v6, v7, v6
	v_add_f32_e32 v7, v28, v35
	v_mov_b32_e32 v19, v18
	v_fmac_f32_e32 v19, 0xbf75a155, v7
	v_add_f32_e32 v54, v19, v9
	v_fma_f32 v9, v7, s14, -v18
	v_add_f32_e32 v55, v9, v8
	v_mul_f32_e32 v8, 0x3f0a6770, v17
	v_mov_b32_e32 v9, v8
	v_fma_f32 v8, v7, s10, -v8
	v_fmac_f32_e32 v9, 0x3f575c64, v7
	v_add_f32_e32 v58, v8, v10
	v_mul_f32_e32 v8, 0xbf4178ce, v17
	v_add_f32_e32 v56, v9, v11
	v_mov_b32_e32 v9, v8
	v_fma_f32 v8, v7, s11, -v8
	v_fmac_f32_e32 v9, 0xbf27a4f4, v7
	v_add_f32_e32 v63, v8, v12
	v_mul_f32_e32 v8, 0x3f68dda4, v17
	v_add_f32_e32 v59, v9, v13
	;; [unrolled: 6-line block ×3, first 2 shown]
	v_mov_b32_e32 v9, v8
	v_add3_u32 v26, 0, v1, v62
	v_lshlrev_b32_e32 v1, 2, v60
	v_fmac_f32_e32 v9, 0xbe11bafb, v7
	v_fma_f32 v7, v7, s7, -v8
	v_add_u32_e32 v31, 0x800, v30
	v_add3_u32 v28, 0, v1, v62
	v_add_u32_e32 v41, 0xa00, v30
	v_add_u32_e32 v35, 0x200, v30
	;; [unrolled: 1-line block ×6, first 2 shown]
	v_add_f32_e32 v69, v9, v16
	v_add_f32_e32 v70, v7, v6
	s_waitcnt lgkmcnt(0)
	s_barrier
	ds_read_b32 v47, v44
	ds_read_b32 v46, v28
	ds_read2_b32 v[18:19], v31 offset0:82 offset1:148
	ds_read2_b32 v[16:17], v41 offset0:86 offset1:152
	ds_read2_b32 v[10:11], v35 offset0:70 offset1:136
	ds_read2_b32 v[14:15], v42 offset0:90 offset1:156
	ds_read2_b32 v[8:9], v45 offset0:74 offset1:140
	ds_read2_b32 v[12:13], v43 offset0:94 offset1:160
	ds_read2_b32 v[6:7], v34 offset0:78 offset1:144
	ds_read_b32 v52, v26
	ds_read_b32 v53, v30 offset:4488
	s_waitcnt lgkmcnt(0)
	s_barrier
	ds_write2_b32 v65, v66, v54 offset1:6
	ds_write2_b32 v65, v56, v59 offset0:12 offset1:18
	ds_write2_b32 v65, v64, v69 offset0:24 offset1:30
	;; [unrolled: 1-line block ×4, first 2 shown]
	ds_write_b32 v65, v55 offset:240
	s_and_saveexec_b64 s[4:5], s[0:1]
	s_cbranch_execz .LBB0_20
; %bb.19:
	v_add_f32_e32 v1, v5, v51
	v_add_f32_e32 v1, v1, v40
	;; [unrolled: 1-line block ×5, first 2 shown]
	v_sub_f32_e32 v50, v50, v57
	v_add_f32_e32 v1, v1, v24
	v_mul_f32_e32 v54, 0xbf0a6770, v50
	v_mul_f32_e32 v56, 0xbf68dda4, v50
	;; [unrolled: 1-line block ×5, first 2 shown]
	v_add_f32_e32 v1, v1, v32
	v_add_f32_e32 v51, v51, v68
	s_mov_b32 s0, 0x3f575c64
	s_mov_b32 s1, 0x3ed4b147
	s_mov_b32 s6, 0xbe11bafb
	s_mov_b32 s7, 0xbf27a4f4
	s_mov_b32 s10, 0xbf75a155
	v_mov_b32_e32 v65, v50
	v_sub_f32_e32 v39, v39, v48
	v_add_f32_e32 v1, v1, v38
	v_fma_f32 v55, v51, s0, -v54
	v_fmac_f32_e32 v54, 0x3f575c64, v51
	v_fma_f32 v57, v51, s1, -v56
	v_fmac_f32_e32 v56, 0x3ed4b147, v51
	;; [unrolled: 2-line block ×4, first 2 shown]
	v_fmac_f32_e32 v65, 0xbf75a155, v51
	v_fma_f32 v50, v51, s10, -v50
	v_add_f32_e32 v40, v40, v49
	v_mul_f32_e32 v48, 0xbf68dda4, v39
	v_add_f32_e32 v1, v1, v49
	v_add_f32_e32 v54, v5, v54
	;; [unrolled: 1-line block ×11, first 2 shown]
	v_fma_f32 v49, v40, s1, -v48
	v_fmac_f32_e32 v48, 0x3ed4b147, v40
	v_mul_f32_e32 v50, 0xbf4178ce, v39
	v_add_f32_e32 v48, v48, v54
	v_fma_f32 v51, v40, s7, -v50
	v_fmac_f32_e32 v50, 0xbf27a4f4, v40
	v_mul_f32_e32 v54, 0x3e903f40, v39
	v_add_f32_e32 v49, v49, v55
	v_add_f32_e32 v50, v50, v56
	v_fma_f32 v55, v40, s10, -v54
	v_fmac_f32_e32 v54, 0xbf75a155, v40
	v_mul_f32_e32 v56, 0x3f7d64f0, v39
	v_mul_f32_e32 v39, 0x3f0a6770, v39
	v_sub_f32_e32 v33, v36, v33
	v_add_f32_e32 v54, v54, v58
	v_mov_b32_e32 v58, v39
	v_fma_f32 v39, v40, s0, -v39
	v_add_f32_e32 v37, v37, v38
	v_mul_f32_e32 v36, 0xbf7d64f0, v33
	v_add_f32_e32 v5, v39, v5
	v_fma_f32 v38, v37, s6, -v36
	v_fmac_f32_e32 v36, 0xbe11bafb, v37
	v_mul_f32_e32 v39, 0x3e903f40, v33
	v_add_f32_e32 v51, v51, v57
	v_fma_f32 v57, v40, s6, -v56
	v_fmac_f32_e32 v56, 0xbe11bafb, v40
	v_fmac_f32_e32 v58, 0x3f575c64, v40
	v_add_f32_e32 v36, v36, v48
	v_fma_f32 v40, v37, s10, -v39
	v_fmac_f32_e32 v39, 0xbf75a155, v37
	v_mul_f32_e32 v48, 0x3f68dda4, v33
	v_add_f32_e32 v38, v38, v49
	v_add_f32_e32 v39, v39, v50
	v_fma_f32 v49, v37, s1, -v48
	v_fmac_f32_e32 v48, 0x3ed4b147, v37
	v_mul_f32_e32 v50, 0xbf0a6770, v33
	v_mul_f32_e32 v33, 0xbf4178ce, v33
	v_sub_f32_e32 v25, v25, v29
	v_add_f32_e32 v48, v48, v54
	v_mov_b32_e32 v54, v33
	v_fma_f32 v33, v37, s7, -v33
	v_add_f32_e32 v27, v27, v32
	v_mul_f32_e32 v29, 0xbf4178ce, v25
	v_add_f32_e32 v5, v33, v5
	v_fma_f32 v32, v27, s7, -v29
	v_fmac_f32_e32 v29, 0xbf27a4f4, v27
	v_mul_f32_e32 v33, 0x3f7d64f0, v25
	v_add_f32_e32 v40, v40, v51
	v_fma_f32 v51, v37, s0, -v50
	v_fmac_f32_e32 v50, 0x3f575c64, v37
	v_fmac_f32_e32 v54, 0xbf27a4f4, v37
	;; [unrolled: 24-line block ×3, first 2 shown]
	v_add_f32_e32 v23, v23, v29
	v_fma_f32 v27, v22, s0, -v25
	v_fmac_f32_e32 v25, 0x3f575c64, v22
	v_mul_f32_e32 v29, 0xbf4178ce, v21
	v_add_f32_e32 v24, v24, v32
	v_add_f32_e32 v25, v25, v33
	v_fma_f32 v32, v22, s7, -v29
	v_fmac_f32_e32 v29, 0xbf27a4f4, v22
	v_mul_f32_e32 v33, 0x3f68dda4, v21
	v_mul_f32_e32 v21, 0xbf7d64f0, v21
	v_add_f32_e32 v29, v29, v37
	v_mov_b32_e32 v37, v21
	v_fma_f32 v21, v22, s6, -v21
	v_add_f32_e32 v55, v55, v59
	v_add_f32_e32 v56, v56, v63
	;; [unrolled: 1-line block ×5, first 2 shown]
	s_movk_i32 s0, 0x108
	v_mov_b32_e32 v21, 2
	v_add_f32_e32 v49, v49, v55
	v_add_f32_e32 v50, v50, v56
	;; [unrolled: 1-line block ×4, first 2 shown]
	v_mad_u32_u24 v4, v4, s0, 0
	v_lshlrev_b32_sdwa v20, v21, v20 dst_sel:DWORD dst_unused:UNUSED_PAD src0_sel:DWORD src1_sel:BYTE_0
	v_add_f32_e32 v1, v1, v68
	v_add_f32_e32 v38, v38, v49
	;; [unrolled: 1-line block ×6, first 2 shown]
	v_fma_f32 v36, v22, s1, -v33
	v_fmac_f32_e32 v33, 0x3ed4b147, v22
	v_fmac_f32_e32 v37, 0xbe11bafb, v22
	v_add3_u32 v4, v4, v20, v62
	v_add_f32_e32 v32, v32, v38
	v_add_f32_e32 v33, v33, v39
	;; [unrolled: 1-line block ×4, first 2 shown]
	ds_write2_b32 v4, v1, v23 offset1:6
	ds_write2_b32 v4, v25, v29 offset0:12 offset1:18
	ds_write2_b32 v4, v33, v37 offset0:24 offset1:30
	;; [unrolled: 1-line block ×4, first 2 shown]
	ds_write_b32 v4, v24 offset:240
.LBB0_20:
	s_or_b64 exec, exec, s[4:5]
	v_mov_b32_e32 v1, 0
	v_lshlrev_b64 v[4:5], 3, v[0:1]
	v_mov_b32_e32 v40, s9
	v_add_co_u32_e64 v4, s[0:1], s8, v4
	v_addc_co_u32_e64 v5, s[0:1], v40, v5, s[0:1]
	s_movk_i32 s0, 0xf9
	v_add_u32_e32 v24, 0xc6, v0
	v_mul_lo_u16_sdwa v20, v60, s0 dst_sel:DWORD dst_unused:UNUSED_PAD src0_sel:BYTE_0 src1_sel:DWORD
	s_mov_b32 s0, 0xf83f
	v_mul_u32_u24_sdwa v21, v24, s0 dst_sel:DWORD dst_unused:UNUSED_PAD src0_sel:WORD_0 src1_sel:DWORD
	v_add_u32_e32 v23, 0x108, v0
	v_lshrrev_b32_e32 v21, 22, v21
	v_mul_lo_u16_e32 v21, 0x42, v21
	v_mul_u32_u24_sdwa v71, v23, s0 dst_sel:DWORD dst_unused:UNUSED_PAD src0_sel:WORD_0 src1_sel:DWORD
	v_lshrrev_b16_e32 v20, 14, v20
	v_sub_u16_e32 v70, v24, v21
	v_lshrrev_b32_e32 v21, 22, v71
	v_mul_lo_u16_e32 v20, 0x42, v20
	v_mul_lo_u16_e32 v21, 0x42, v21
	v_sub_u16_e32 v69, v60, v20
	v_mov_b32_e32 v20, 3
	v_sub_u16_e32 v72, v23, v21
	v_add_u32_e32 v22, 0x14a, v0
	v_add_u32_e32 v27, 0x18c, v0
	s_waitcnt lgkmcnt(0)
	s_barrier
	v_lshlrev_b32_sdwa v20, v20, v69 dst_sel:DWORD dst_unused:UNUSED_PAD src0_sel:DWORD src1_sel:BYTE_0
	global_load_dwordx2 v[4:5], v[4:5], off offset:480
	v_lshlrev_b32_e32 v38, 3, v70
	global_load_dwordx2 v[20:21], v20, s[8:9] offset:480
	v_lshlrev_b32_e32 v39, 3, v72
	global_load_dwordx2 v[32:33], v38, s[8:9] offset:480
	global_load_dwordx2 v[36:37], v39, s[8:9] offset:480
	v_mul_u32_u24_sdwa v73, v22, s0 dst_sel:DWORD dst_unused:UNUSED_PAD src0_sel:WORD_0 src1_sel:DWORD
	v_mul_u32_u24_sdwa v39, v27, s0 dst_sel:DWORD dst_unused:UNUSED_PAD src0_sel:WORD_0 src1_sel:DWORD
	v_add_u32_e32 v25, 0x1ce, v0
	v_lshrrev_b32_e32 v38, 22, v73
	v_lshrrev_b32_e32 v39, 22, v39
	v_mul_lo_u16_e32 v38, 0x42, v38
	v_mul_lo_u16_e32 v39, 0x42, v39
	v_mul_u32_u24_sdwa v49, v25, s0 dst_sel:DWORD dst_unused:UNUSED_PAD src0_sel:WORD_0 src1_sel:DWORD
	v_sub_u16_e32 v74, v22, v38
	v_sub_u16_e32 v75, v27, v39
	v_lshrrev_b32_e32 v49, 22, v49
	v_lshlrev_b32_e32 v38, 3, v74
	v_lshlrev_b32_e32 v48, 3, v75
	v_mul_lo_u16_e32 v49, 0x42, v49
	global_load_dwordx2 v[38:39], v38, s[8:9] offset:480
	v_sub_u16_e32 v76, v25, v49
	global_load_dwordx2 v[48:49], v48, s[8:9] offset:480
	v_add_u32_e32 v29, 0x210, v0
	v_mul_u32_u24_sdwa v51, v29, s0 dst_sel:DWORD dst_unused:UNUSED_PAD src0_sel:WORD_0 src1_sel:DWORD
	v_lshrrev_b32_e32 v54, 22, v51
	v_mul_lo_u16_e32 v54, 0x42, v54
	v_lshlrev_b32_e32 v50, 3, v76
	global_load_dwordx2 v[50:51], v50, s[8:9] offset:480
	v_sub_u16_e32 v29, v29, v54
	v_lshlrev_b32_e32 v54, 3, v29
	global_load_dwordx2 v[54:55], v54, s[8:9] offset:480
	ds_read_b32 v77, v44
	ds_read2_b32 v[56:57], v31 offset0:82 offset1:148
	ds_read2_b32 v[58:59], v41 offset0:86 offset1:152
	;; [unrolled: 1-line block ×5, first 2 shown]
	s_waitcnt vmcnt(7) lgkmcnt(4)
	v_mul_f32_e32 v78, v56, v5
	v_mul_f32_e32 v80, v57, v5
	;; [unrolled: 1-line block ×4, first 2 shown]
	v_fma_f32 v78, v18, v4, -v78
	v_fma_f32 v80, v19, v4, -v80
	ds_read2_b32 v[18:19], v43 offset0:94 offset1:160
	v_fmac_f32_e32 v81, v57, v4
	s_waitcnt vmcnt(4) lgkmcnt(2)
	v_mul_f32_e32 v57, v65, v37
	v_fma_f32 v57, v14, v36, -v57
	v_mul_f32_e32 v14, v14, v37
	v_fmac_f32_e32 v14, v65, v36
	v_fmac_f32_e32 v79, v56, v4
	v_mul_f32_e32 v56, v58, v21
	v_mul_f32_e32 v21, v16, v21
	v_fma_f32 v16, v16, v20, -v56
	v_fmac_f32_e32 v21, v58, v20
	v_mul_f32_e32 v20, v59, v33
	v_mul_f32_e32 v33, v17, v33
	s_waitcnt vmcnt(3)
	v_mul_f32_e32 v36, v66, v39
	v_fma_f32 v36, v15, v38, -v36
	s_waitcnt vmcnt(2) lgkmcnt(0)
	v_mul_f32_e32 v37, v18, v49
	v_mul_f32_e32 v15, v15, v39
	v_fma_f32 v37, v12, v48, -v37
	v_mul_f32_e32 v12, v12, v49
	v_sub_f32_e32 v39, v47, v78
	v_fmac_f32_e32 v12, v18, v48
	v_fma_f32 v47, v47, 2.0, -v39
	v_sub_f32_e32 v48, v52, v80
	ds_read2_b32 v[4:5], v34 offset0:78 offset1:144
	v_fma_f32 v17, v17, v32, -v20
	v_fmac_f32_e32 v33, v59, v32
	ds_read_b32 v20, v28
	ds_read_b32 v32, v26
	ds_read_b32 v56, v30 offset:4488
	v_fma_f32 v49, v52, 2.0, -v48
	s_waitcnt vmcnt(0) lgkmcnt(0)
	s_barrier
	ds_write2_b32 v30, v47, v39 offset1:66
	ds_write2_b32 v30, v49, v48 offset0:132 offset1:198
	v_mov_b32_e32 v39, 2
	v_lshlrev_b32_sdwa v39, v39, v69 dst_sel:DWORD dst_unused:UNUSED_PAD src0_sel:DWORD src1_sel:BYTE_0
	v_sub_f32_e32 v16, v46, v16
	v_add3_u32 v39, 0, v39, v62
	v_fmac_f32_e32 v15, v66, v38
	v_sub_f32_e32 v66, v20, v21
	v_fma_f32 v21, v46, 2.0, -v16
	v_add_u32_e32 v39, 0x400, v39
	ds_write2_b32 v39, v21, v16 offset0:8 offset1:74
	v_lshlrev_b32_e32 v16, 2, v70
	v_mul_f32_e32 v18, v19, v51
	v_sub_f32_e32 v17, v10, v17
	v_add3_u32 v16, 0, v16, v62
	v_fma_f32 v18, v13, v50, -v18
	v_mul_f32_e32 v13, v13, v51
	v_mul_f32_e32 v38, v53, v55
	v_fma_f32 v10, v10, 2.0, -v17
	v_add_u32_e32 v16, 0x400, v16
	v_fmac_f32_e32 v13, v19, v50
	v_mul_f32_e32 v19, v56, v55
	v_fmac_f32_e32 v38, v56, v54
	v_sub_f32_e32 v56, v77, v79
	ds_write2_b32 v16, v10, v17 offset0:140 offset1:206
	v_lshlrev_b32_e32 v10, 2, v72
	v_fma_f32 v58, v77, 2.0, -v56
	v_fma_f32 v77, v20, 2.0, -v66
	v_sub_f32_e32 v20, v11, v57
	v_add3_u32 v10, 0, v10, v62
	v_fma_f32 v11, v11, 2.0, -v20
	v_add_u32_e32 v10, 0x800, v10
	v_sub_f32_e32 v59, v32, v81
	ds_write2_b32 v10, v11, v20 offset0:16 offset1:82
	v_lshlrev_b32_e32 v11, 2, v74
	v_fma_f32 v65, v32, 2.0, -v59
	v_sub_f32_e32 v32, v8, v36
	v_add3_u32 v11, 0, v11, v62
	v_fma_f32 v8, v8, 2.0, -v32
	v_add_u32_e32 v11, 0x800, v11
	ds_write2_b32 v11, v8, v32 offset0:148 offset1:214
	v_lshlrev_b32_e32 v8, 2, v75
	v_sub_f32_e32 v78, v63, v33
	v_sub_f32_e32 v33, v9, v37
	v_add3_u32 v8, 0, v8, v62
	v_fma_f32 v9, v9, 2.0, -v33
	v_add_u32_e32 v8, 0xc00, v8
	ds_write2_b32 v8, v9, v33 offset0:24 offset1:90
	v_lshlrev_b32_e32 v9, 2, v76
	v_sub_f32_e32 v18, v6, v18
	v_add3_u32 v9, 0, v9, v62
	v_fma_f32 v6, v6, 2.0, -v18
	v_add_u32_e32 v9, 0xc00, v9
	v_fma_f32 v19, v53, v54, -v19
	ds_write2_b32 v9, v6, v18 offset0:156 offset1:222
	v_lshlrev_b32_e32 v6, 2, v29
	v_sub_f32_e32 v13, v4, v13
	v_sub_f32_e32 v19, v7, v19
	;; [unrolled: 1-line block ×3, first 2 shown]
	v_add3_u32 v6, 0, v6, v62
	v_sub_f32_e32 v14, v64, v14
	v_sub_f32_e32 v15, v67, v15
	;; [unrolled: 1-line block ×3, first 2 shown]
	v_fma_f32 v4, v4, 2.0, -v13
	v_fma_f32 v7, v7, 2.0, -v19
	;; [unrolled: 1-line block ×3, first 2 shown]
	v_add_u32_e32 v6, 0x1000, v6
	v_fma_f32 v63, v63, 2.0, -v78
	v_fma_f32 v57, v64, 2.0, -v14
	;; [unrolled: 1-line block ×4, first 2 shown]
	ds_write2_b32 v6, v7, v19 offset0:32 offset1:98
	s_waitcnt lgkmcnt(0)
	s_barrier
	ds_read_b32 v29, v44
	ds_read2_b32 v[20:21], v45 offset0:74 offset1:140
	ds_read2_b32 v[32:33], v41 offset0:86 offset1:152
	;; [unrolled: 1-line block ×7, first 2 shown]
	ds_read_b32 v69, v28
	ds_read_b32 v70, v26
	ds_read_b32 v72, v30 offset:4488
	s_waitcnt lgkmcnt(0)
	s_barrier
	ds_write2_b32 v30, v58, v56 offset1:66
	ds_write2_b32 v30, v65, v59 offset0:132 offset1:198
	ds_write2_b32 v39, v77, v66 offset0:8 offset1:74
	ds_write2_b32 v16, v63, v78 offset0:140 offset1:206
	ds_write2_b32 v10, v57, v14 offset0:16 offset1:82
	ds_write2_b32 v11, v36, v15 offset0:148 offset1:214
	ds_write2_b32 v8, v37, v12 offset0:24 offset1:90
	ds_write2_b32 v9, v4, v13 offset0:156 offset1:222
	ds_write2_b32 v6, v5, v38 offset0:32 offset1:98
	v_lshlrev_b32_e32 v4, 1, v0
	v_mov_b32_e32 v5, v1
	v_lshlrev_b64 v[4:5], 3, v[4:5]
	s_waitcnt lgkmcnt(0)
	v_add_co_u32_e64 v4, s[0:1], s8, v4
	v_addc_co_u32_e64 v5, s[0:1], v40, v5, s[0:1]
	s_barrier
	global_load_dwordx4 v[8:11], v[4:5], off offset:1008
	v_lshlrev_b32_e32 v6, 1, v61
	v_mov_b32_e32 v7, v1
	v_lshlrev_b64 v[6:7], 3, v[6:7]
	v_lshrrev_b32_e32 v16, 23, v71
	v_add_co_u32_e64 v6, s[0:1], s8, v6
	v_addc_co_u32_e64 v7, s[0:1], v40, v7, s[0:1]
	global_load_dwordx4 v[12:15], v[6:7], off offset:1008
	v_mul_lo_u16_e32 v16, 0x84, v16
	v_sub_u16_e32 v40, v23, v16
	v_lshrrev_b32_e32 v36, 23, v73
	v_lshlrev_b32_e32 v16, 4, v40
	v_mul_lo_u16_e32 v36, 0x84, v36
	global_load_dwordx4 v[16:19], v16, s[8:9] offset:1008
	v_sub_u16_e32 v61, v22, v36
	v_lshlrev_b32_e32 v36, 4, v61
	global_load_dwordx4 v[36:39], v36, s[8:9] offset:1008
	ds_read_b32 v71, v44
	ds_read2_b32 v[56:57], v45 offset0:74 offset1:140
	ds_read2_b32 v[58:59], v41 offset0:86 offset1:152
	;; [unrolled: 1-line block ×5, first 2 shown]
	s_waitcnt vmcnt(3) lgkmcnt(4)
	v_mul_f32_e32 v73, v57, v9
	v_fma_f32 v73, v21, v8, -v73
	v_mul_f32_e32 v21, v21, v9
	v_fmac_f32_e32 v21, v57, v8
	s_waitcnt lgkmcnt(3)
	v_mul_f32_e32 v57, v59, v11
	v_fma_f32 v57, v33, v10, -v57
	v_mul_f32_e32 v33, v33, v11
	v_fmac_f32_e32 v33, v59, v10
	s_waitcnt lgkmcnt(2)
	v_mul_f32_e32 v59, v64, v9
	v_fma_f32 v59, v47, v8, -v59
	v_mul_f32_e32 v47, v47, v9
	v_fmac_f32_e32 v47, v64, v8
	s_waitcnt lgkmcnt(1)
	v_mul_f32_e32 v8, v66, v11
	v_fma_f32 v64, v49, v10, -v8
	v_mul_f32_e32 v49, v49, v11
	v_fmac_f32_e32 v49, v66, v10
	ds_read2_b32 v[8:9], v31 offset0:82 offset1:148
	s_waitcnt vmcnt(2)
	v_mul_f32_e32 v10, v63, v13
	v_fma_f32 v66, v46, v12, -v10
	ds_read2_b32 v[10:11], v43 offset0:94 offset1:160
	v_mul_f32_e32 v46, v46, v13
	v_fmac_f32_e32 v46, v63, v12
	v_mul_f32_e32 v63, v65, v15
	v_fma_f32 v63, v48, v14, -v63
	v_mul_f32_e32 v48, v48, v15
	v_fmac_f32_e32 v48, v65, v14
	s_waitcnt lgkmcnt(1)
	v_mul_f32_e32 v65, v8, v13
	v_mul_f32_e32 v13, v52, v13
	v_fma_f32 v65, v52, v12, -v65
	v_fmac_f32_e32 v13, v8, v12
	s_waitcnt lgkmcnt(0)
	v_mul_f32_e32 v8, v10, v15
	v_mul_f32_e32 v12, v54, v15
	v_fma_f32 v8, v54, v14, -v8
	v_fmac_f32_e32 v12, v10, v14
	ds_read_b32 v52, v28
	ds_read_b32 v54, v26
	ds_read_b32 v10, v30 offset:4488
	s_waitcnt vmcnt(1)
	v_mul_f32_e32 v14, v9, v17
	v_mul_f32_e32 v15, v53, v17
	v_fma_f32 v14, v53, v16, -v14
	v_fmac_f32_e32 v15, v9, v16
	v_mul_f32_e32 v16, v55, v19
	v_mul_f32_e32 v9, v11, v19
	v_fmac_f32_e32 v16, v11, v18
	s_waitcnt vmcnt(0)
	v_mul_f32_e32 v11, v58, v37
	v_fma_f32 v11, v32, v36, -v11
	v_mul_f32_e32 v17, v32, v37
	v_mul_f32_e32 v19, v72, v39
	v_add_f32_e32 v32, v73, v57
	v_fma_f32 v9, v55, v18, -v9
	s_waitcnt lgkmcnt(0)
	v_mul_f32_e32 v18, v10, v39
	v_fmac_f32_e32 v19, v10, v38
	v_add_f32_e32 v10, v29, v73
	v_fmac_f32_e32 v29, -0.5, v32
	v_fmac_f32_e32 v17, v58, v36
	v_sub_f32_e32 v32, v21, v33
	v_mov_b32_e32 v36, v29
	v_fmac_f32_e32 v36, 0x3f5db3d7, v32
	v_fmac_f32_e32 v29, 0xbf5db3d7, v32
	v_add_f32_e32 v32, v71, v21
	v_add_f32_e32 v21, v21, v33
	v_fmac_f32_e32 v71, -0.5, v21
	v_fma_f32 v18, v72, v38, -v18
	v_add_f32_e32 v37, v32, v33
	v_sub_f32_e32 v21, v73, v57
	v_mov_b32_e32 v38, v71
	v_add_f32_e32 v32, v66, v63
	v_fmac_f32_e32 v38, 0xbf5db3d7, v21
	v_fmac_f32_e32 v71, 0x3f5db3d7, v21
	v_add_f32_e32 v21, v70, v66
	v_fmac_f32_e32 v70, -0.5, v32
	v_sub_f32_e32 v32, v46, v48
	v_mov_b32_e32 v33, v70
	v_fmac_f32_e32 v33, 0x3f5db3d7, v32
	v_fmac_f32_e32 v70, 0xbf5db3d7, v32
	v_add_f32_e32 v32, v54, v46
	v_add_f32_e32 v39, v32, v48
	v_add_f32_e32 v32, v46, v48
	v_fmac_f32_e32 v54, -0.5, v32
	v_sub_f32_e32 v32, v66, v63
	v_mov_b32_e32 v46, v54
	v_add_f32_e32 v48, v59, v64
	v_fmac_f32_e32 v46, 0xbf5db3d7, v32
	v_fmac_f32_e32 v54, 0x3f5db3d7, v32
	v_add_f32_e32 v32, v69, v59
	v_fmac_f32_e32 v69, -0.5, v48
	v_sub_f32_e32 v48, v47, v49
	v_mov_b32_e32 v53, v69
	v_fmac_f32_e32 v53, 0x3f5db3d7, v48
	v_fmac_f32_e32 v69, 0xbf5db3d7, v48
	v_add_f32_e32 v48, v52, v47
	v_add_f32_e32 v47, v47, v49
	v_fmac_f32_e32 v52, -0.5, v47
	v_add_f32_e32 v48, v48, v49
	v_sub_f32_e32 v47, v59, v64
	v_mov_b32_e32 v49, v52
	v_add_f32_e32 v55, v65, v8
	v_fmac_f32_e32 v49, 0xbf5db3d7, v47
	v_fmac_f32_e32 v52, 0x3f5db3d7, v47
	v_add_f32_e32 v47, v50, v65
	v_fma_f32 v50, -0.5, v55, v50
	v_add_f32_e32 v10, v10, v57
	v_sub_f32_e32 v55, v13, v12
	v_mov_b32_e32 v57, v50
	v_fmac_f32_e32 v57, 0x3f5db3d7, v55
	v_fmac_f32_e32 v50, 0xbf5db3d7, v55
	v_add_f32_e32 v55, v67, v13
	v_add_f32_e32 v55, v55, v12
	;; [unrolled: 1-line block ×3, first 2 shown]
	v_fma_f32 v58, -0.5, v12, v67
	v_add_f32_e32 v47, v47, v8
	v_sub_f32_e32 v8, v65, v8
	v_mov_b32_e32 v59, v58
	v_add_f32_e32 v12, v14, v9
	v_fmac_f32_e32 v59, 0xbf5db3d7, v8
	v_fmac_f32_e32 v58, 0x3f5db3d7, v8
	v_add_f32_e32 v8, v51, v14
	v_fmac_f32_e32 v51, -0.5, v12
	v_sub_f32_e32 v12, v15, v16
	v_mov_b32_e32 v13, v51
	v_fmac_f32_e32 v13, 0x3f5db3d7, v12
	v_fmac_f32_e32 v51, 0xbf5db3d7, v12
	v_add_f32_e32 v12, v68, v15
	v_add_f32_e32 v21, v21, v63
	;; [unrolled: 1-line block ×4, first 2 shown]
	v_fmac_f32_e32 v68, -0.5, v12
	v_add_f32_e32 v32, v32, v64
	v_add_f32_e32 v8, v8, v9
	v_sub_f32_e32 v9, v14, v9
	v_mov_b32_e32 v64, v68
	v_add_f32_e32 v12, v11, v18
	v_fmac_f32_e32 v64, 0xbf5db3d7, v9
	v_fmac_f32_e32 v68, 0x3f5db3d7, v9
	v_add_f32_e32 v9, v20, v11
	v_fmac_f32_e32 v20, -0.5, v12
	s_barrier
	ds_write2_b32 v30, v10, v36 offset1:132
	ds_write_b32 v30, v29 offset:1056
	ds_write2_b32 v26, v21, v33 offset1:132
	ds_write_b32 v26, v70 offset:1056
	ds_write2_b32 v34, v32, v53 offset0:12 offset1:144
	ds_write_b32 v30, v69 offset:2640
	v_lshlrev_b32_e32 v10, 2, v40
	v_sub_f32_e32 v12, v17, v19
	v_mov_b32_e32 v14, v20
	v_add_u32_e32 v36, 0x600, v26
	v_add3_u32 v40, 0, v10, v62
	v_fmac_f32_e32 v14, 0x3f5db3d7, v12
	v_fmac_f32_e32 v20, 0xbf5db3d7, v12
	v_add_f32_e32 v12, v56, v17
	ds_write2_b32 v36, v47, v57 offset0:12 offset1:144
	ds_write_b32 v26, v50 offset:2640
	v_add_u32_e32 v47, 0xc00, v40
	v_add_f32_e32 v65, v12, v19
	v_add_f32_e32 v12, v17, v19
	ds_write2_b32 v47, v8, v13 offset0:24 offset1:156
	ds_write_b32 v40, v51 offset:4224
	v_lshlrev_b32_e32 v8, 2, v61
	v_fmac_f32_e32 v56, -0.5, v12
	v_add3_u32 v50, 0, v8, v62
	v_add_f32_e32 v9, v9, v18
	v_sub_f32_e32 v11, v11, v18
	v_mov_b32_e32 v66, v56
	v_add_u32_e32 v51, 0xc00, v50
	v_fmac_f32_e32 v66, 0xbf5db3d7, v11
	v_fmac_f32_e32 v56, 0x3f5db3d7, v11
	ds_write2_b32 v51, v9, v14 offset0:24 offset1:156
	ds_write_b32 v50, v20 offset:4224
	s_waitcnt lgkmcnt(0)
	s_barrier
	ds_read_b32 v29, v44
	ds_read2_b32 v[10:11], v45 offset0:74 offset1:140
	ds_read2_b32 v[8:9], v41 offset0:86 offset1:152
	ds_read2_b32 v[14:15], v34 offset0:78 offset1:144
	ds_read2_b32 v[12:13], v42 offset0:90 offset1:156
	ds_read2_b32 v[16:17], v35 offset0:70 offset1:136
	ds_read2_b32 v[20:21], v31 offset0:82 offset1:148
	ds_read2_b32 v[18:19], v43 offset0:94 offset1:160
	ds_read_b32 v32, v28
	ds_read_b32 v31, v26
	ds_read_b32 v33, v30 offset:4488
	s_waitcnt lgkmcnt(0)
	s_barrier
	ds_write2_b32 v30, v37, v38 offset1:132
	ds_write_b32 v30, v71 offset:1056
	ds_write2_b32 v26, v39, v46 offset1:132
	ds_write_b32 v26, v54 offset:1056
	ds_write2_b32 v34, v48, v49 offset0:12 offset1:144
	ds_write_b32 v30, v52 offset:2640
	ds_write2_b32 v36, v55, v59 offset0:12 offset1:144
	;; [unrolled: 2-line block ×4, first 2 shown]
	ds_write_b32 v50, v56 offset:4224
	s_waitcnt lgkmcnt(0)
	s_barrier
	s_and_saveexec_b64 s[0:1], vcc
	s_cbranch_execz .LBB0_22
; %bb.21:
	v_lshlrev_b32_e32 v34, 1, v22
	v_mov_b32_e32 v35, v1
	v_lshlrev_b64 v[34:35], 3, v[34:35]
	v_lshlrev_b32_e32 v38, 1, v23
	v_mov_b32_e32 v39, v1
	v_mov_b32_e32 v49, s9
	v_add_co_u32_e32 v34, vcc, s8, v34
	v_lshlrev_b64 v[38:39], 3, v[38:39]
	v_addc_co_u32_e32 v35, vcc, v49, v35, vcc
	global_load_dwordx4 v[34:37], v[34:35], off offset:3120
	v_add_co_u32_e32 v38, vcc, s8, v38
	v_addc_co_u32_e32 v39, vcc, v49, v39, vcc
	global_load_dwordx4 v[38:41], v[38:39], off offset:3120
	v_lshlrev_b32_e32 v42, 1, v24
	v_mov_b32_e32 v43, v1
	v_lshlrev_b64 v[42:43], 3, v[42:43]
	v_add_u32_e32 v50, 0x400, v30
	v_add_co_u32_e32 v42, vcc, s8, v42
	v_addc_co_u32_e32 v43, vcc, v49, v43, vcc
	global_load_dwordx4 v[45:48], v[42:43], off offset:3120
	v_lshlrev_b32_e32 v42, 1, v60
	v_mov_b32_e32 v43, v1
	v_lshlrev_b64 v[42:43], 3, v[42:43]
	v_add_u32_e32 v51, 0xa00, v30
	v_add_co_u32_e32 v42, vcc, s8, v42
	v_add_u32_e32 v52, 0x800, v30
	v_add_u32_e32 v59, 0xe00, v30
	v_addc_co_u32_e32 v43, vcc, v49, v43, vcc
	ds_read_b32 v1, v28
	ds_read_b32 v26, v26
	ds_read_b32 v28, v30 offset:4488
	ds_read_b32 v66, v44
	ds_read2_b32 v[53:54], v50 offset0:74 offset1:140
	ds_read2_b32 v[55:56], v51 offset0:86 offset1:152
	;; [unrolled: 1-line block ×4, first 2 shown]
	global_load_dwordx4 v[49:52], v[42:43], off offset:3120
	v_add_u32_e32 v61, 0x200, v30
	ds_read2_b32 v[42:43], v61 offset0:70 offset1:136
	s_waitcnt vmcnt(3)
	v_mul_f32_e32 v44, v8, v35
	v_mul_f32_e32 v61, v33, v37
	s_waitcnt lgkmcnt(3)
	v_mul_f32_e32 v35, v55, v35
	v_mul_f32_e32 v37, v28, v37
	v_fmac_f32_e32 v44, v55, v34
	v_fmac_f32_e32 v61, v28, v36
	v_fma_f32 v8, v8, v34, -v35
	v_fma_f32 v28, v33, v36, -v37
	global_load_dwordx4 v[33:36], v[6:7], off offset:3120
	s_waitcnt vmcnt(3) lgkmcnt(1)
	v_mul_f32_e32 v63, v60, v41
	v_mul_f32_e32 v67, v21, v39
	v_mul_f32_e32 v41, v19, v41
	v_fmac_f32_e32 v67, v38, v58
	v_fmac_f32_e32 v41, v40, v60
	v_mul_f32_e32 v62, v58, v39
	v_fma_f32 v19, v19, v40, -v63
	v_add_f32_e32 v40, v53, v44
	v_add_f32_e32 v7, v67, v41
	v_fma_f32 v21, v21, v38, -v62
	v_add_f32_e32 v37, v44, v61
	v_sub_f32_e32 v58, v44, v61
	v_add_f32_e32 v40, v40, v61
	s_waitcnt lgkmcnt(0)
	v_fma_f32 v61, -0.5, v7, v43
	v_sub_f32_e32 v6, v21, v19
	v_mov_b32_e32 v65, v61
	v_fmac_f32_e32 v65, 0x3f5db3d7, v6
	v_fmac_f32_e32 v61, 0xbf5db3d7, v6
	global_load_dwordx4 v[4:7], v[4:5], off offset:3120
	v_sub_f32_e32 v55, v8, v28
	v_add_f32_e32 v39, v8, v28
	v_add_f32_e32 v8, v10, v8
	;; [unrolled: 1-line block ×3, first 2 shown]
	v_fma_f32 v38, -0.5, v37, v53
	v_fma_f32 v37, -0.5, v39, v10
	v_add_f32_e32 v39, v8, v28
	v_add_f32_e32 v8, v67, v43
	v_sub_f32_e32 v68, v67, v41
	v_fma_f32 v60, -0.5, v44, v17
	v_add_f32_e32 v44, v41, v8
	s_waitcnt vmcnt(3)
	v_mul_f32_e32 v28, v20, v46
	v_mul_f32_e32 v41, v18, v48
	v_add_f32_e32 v8, v17, v21
	v_fmac_f32_e32 v28, v45, v57
	v_fmac_f32_e32 v41, v47, v59
	v_add_f32_e32 v43, v8, v19
	v_mul_f32_e32 v8, v57, v46
	v_mul_f32_e32 v10, v59, v48
	v_add_f32_e32 v17, v28, v41
	v_fma_f32 v8, v20, v45, -v8
	v_fma_f32 v10, v18, v47, -v10
	v_fma_f32 v18, -0.5, v17, v42
	v_sub_f32_e32 v21, v8, v10
	v_mov_b32_e32 v20, v18
	v_add_f32_e32 v17, v8, v10
	v_fmac_f32_e32 v20, 0x3f5db3d7, v21
	v_fma_f32 v17, -0.5, v17, v16
	v_fmac_f32_e32 v18, 0xbf5db3d7, v21
	v_add_f32_e32 v21, v28, v42
	v_sub_f32_e32 v45, v28, v41
	v_mov_b32_e32 v19, v17
	v_add_f32_e32 v42, v41, v21
	v_add_u32_e32 v21, 0x600, v30
	v_fmac_f32_e32 v19, 0xbf5db3d7, v45
	v_fmac_f32_e32 v17, 0x3f5db3d7, v45
	ds_read2_b32 v[45:46], v21 offset0:78 offset1:144
	v_add_u32_e32 v21, 0xc00, v30
	ds_read2_b32 v[47:48], v21 offset0:90 offset1:156
	v_add_f32_e32 v8, v16, v8
	v_add_f32_e32 v41, v8, v10
	s_waitcnt vmcnt(2)
	v_mul_f32_e32 v28, v15, v50
	s_waitcnt lgkmcnt(1)
	v_mul_f32_e32 v8, v46, v50
	s_waitcnt lgkmcnt(0)
	v_mul_f32_e32 v10, v48, v52
	v_fma_f32 v10, v13, v51, -v10
	v_mul_f32_e32 v13, v13, v52
	v_fmac_f32_e32 v28, v49, v46
	v_fmac_f32_e32 v13, v51, v48
	v_fma_f32 v8, v15, v49, -v8
	v_add_f32_e32 v15, v28, v13
	v_fma_f32 v16, -0.5, v15, v1
	v_add_f32_e32 v1, v28, v1
	v_add_f32_e32 v51, v13, v1
	;; [unrolled: 1-line block ×3, first 2 shown]
	v_sub_f32_e32 v21, v8, v10
	v_mov_b32_e32 v49, v16
	v_add_f32_e32 v50, v1, v10
	v_fmac_f32_e32 v49, 0x3f5db3d7, v21
	v_fmac_f32_e32 v16, 0xbf5db3d7, v21
	v_add_f32_e32 v15, v8, v10
	s_waitcnt vmcnt(1)
	v_mul_f32_e32 v1, v45, v34
	v_fma_f32 v1, v14, v33, -v1
	v_mul_f32_e32 v14, v14, v34
	v_mul_f32_e32 v21, v12, v36
	v_mul_f32_e32 v8, v47, v36
	v_fmac_f32_e32 v14, v33, v45
	v_fmac_f32_e32 v21, v35, v47
	v_fma_f32 v8, v12, v35, -v8
	v_add_f32_e32 v12, v14, v21
	v_sub_f32_e32 v30, v28, v13
	v_fma_f32 v13, -0.5, v12, v26
	v_sub_f32_e32 v10, v1, v8
	v_mov_b32_e32 v33, v13
	v_add_f32_e32 v12, v1, v8
	v_add_f32_e32 v1, v31, v1
	v_fmac_f32_e32 v33, 0x3f5db3d7, v10
	v_fmac_f32_e32 v13, 0xbf5db3d7, v10
	v_add_f32_e32 v10, v14, v26
	v_add_f32_e32 v34, v1, v8
	s_waitcnt vmcnt(0)
	v_mul_f32_e32 v1, v54, v5
	v_sub_f32_e32 v28, v14, v21
	v_add_f32_e32 v35, v21, v10
	v_fma_f32 v14, v11, v4, -v1
	v_mul_f32_e32 v1, v56, v7
	v_mul_f32_e32 v10, v11, v5
	;; [unrolled: 1-line block ×3, first 2 shown]
	v_fma_f32 v21, v9, v6, -v1
	v_fmac_f32_e32 v10, v4, v54
	v_fmac_f32_e32 v11, v6, v56
	v_mad_u64_u32 v[8:9], s[0:1], s2, v0, 0
	v_add_f32_e32 v4, v10, v11
	v_fma_f32 v5, -0.5, v4, v66
	v_add_f32_e32 v4, v14, v21
	v_sub_f32_e32 v1, v14, v21
	v_mov_b32_e32 v7, v5
	v_fma_f32 v4, -0.5, v4, v29
	v_fmac_f32_e32 v7, 0x3f5db3d7, v1
	v_sub_f32_e32 v26, v10, v11
	v_mov_b32_e32 v6, v4
	v_fmac_f32_e32 v5, 0xbf5db3d7, v1
	v_mov_b32_e32 v1, v9
	v_fmac_f32_e32 v6, 0xbf5db3d7, v26
	v_fmac_f32_e32 v4, 0x3f5db3d7, v26
	v_add_f32_e32 v26, v10, v66
	v_mad_u64_u32 v[9:10], s[0:1], s3, v0, v[1:2]
	v_add_f32_e32 v1, v29, v14
	v_add_f32_e32 v10, v1, v21
	v_mov_b32_e32 v1, s13
	v_add_co_u32_e32 v14, vcc, s12, v2
	v_addc_co_u32_e32 v21, vcc, v1, v3, vcc
	v_lshlrev_b64 v[1:2], 3, v[8:9]
	v_mad_u64_u32 v[8:9], s[0:1], s2, v27, 0
	v_add_f32_e32 v11, v11, v26
	v_fma_f32 v12, -0.5, v12, v31
	v_mov_b32_e32 v3, v9
	v_mad_u64_u32 v[26:27], s[0:1], s3, v27, v[3:4]
	v_fma_f32 v15, -0.5, v15, v32
	v_mov_b32_e32 v32, v12
	v_add_co_u32_e32 v1, vcc, v14, v1
	v_add_u32_e32 v29, 0x318, v0
	v_fmac_f32_e32 v32, 0xbf5db3d7, v28
	v_fmac_f32_e32 v12, 0x3f5db3d7, v28
	v_addc_co_u32_e32 v2, vcc, v21, v2, vcc
	v_mad_u64_u32 v[27:28], s[0:1], s2, v29, 0
	v_mov_b32_e32 v9, v26
	global_store_dwordx2 v[1:2], v[10:11], off
	v_lshlrev_b64 v[1:2], 3, v[8:9]
	v_mov_b32_e32 v3, v28
	v_add_co_u32_e32 v1, vcc, v14, v1
	v_addc_co_u32_e32 v2, vcc, v21, v2, vcc
	v_mad_u64_u32 v[8:9], s[0:1], s3, v29, v[3:4]
	global_store_dwordx2 v[1:2], v[4:5], off
	v_add_u32_e32 v5, 0x42, v0
	v_mad_u64_u32 v[3:4], s[4:5], s2, v5, 0
	v_mov_b32_e32 v28, v8
	v_lshlrev_b64 v[1:2], 3, v[27:28]
	v_mad_u64_u32 v[4:5], s[4:5], s3, v5, v[4:5]
	v_mad_u64_u32 v[8:9], s[4:5], s2, v25, 0
	v_add_co_u32_e32 v1, vcc, v14, v1
	v_addc_co_u32_e32 v2, vcc, v21, v2, vcc
	global_store_dwordx2 v[1:2], v[6:7], off
	v_lshlrev_b64 v[1:2], 3, v[3:4]
	v_mov_b32_e32 v3, v9
	v_mad_u64_u32 v[3:4], s[4:5], s3, v25, v[3:4]
	v_add_u32_e32 v5, 0x35a, v0
	v_add_co_u32_e32 v1, vcc, v14, v1
	v_mov_b32_e32 v9, v3
	v_mad_u64_u32 v[3:4], s[4:5], s2, v5, 0
	v_addc_co_u32_e32 v2, vcc, v21, v2, vcc
	v_mad_u64_u32 v[4:5], s[4:5], s3, v5, v[4:5]
	v_add_u32_e32 v5, 0x84, v0
	s_mov_b32 s1, 0xa57eb503
	global_store_dwordx2 v[1:2], v[34:35], off
	v_lshlrev_b64 v[1:2], 3, v[8:9]
	v_mul_hi_u32 v6, v5, s1
	v_add_co_u32_e32 v1, vcc, v14, v1
	v_addc_co_u32_e32 v2, vcc, v21, v2, vcc
	s_movk_i32 s0, 0x318
	global_store_dwordx2 v[1:2], v[12:13], off
	v_lshrrev_b32_e32 v2, 8, v6
	v_mad_u32_u24 v6, v2, s0, v5
	v_lshlrev_b64 v[0:1], 3, v[3:4]
	v_mad_u64_u32 v[2:3], s[4:5], s2, v6, 0
	v_add_u32_e32 v7, 0x18c, v6
	v_add_co_u32_e32 v0, vcc, v14, v0
	v_mad_u64_u32 v[3:4], s[4:5], s3, v6, v[3:4]
	v_mad_u64_u32 v[4:5], s[4:5], s2, v7, 0
	v_addc_co_u32_e32 v1, vcc, v21, v1, vcc
	global_store_dwordx2 v[0:1], v[32:33], off
	v_lshlrev_b64 v[0:1], 3, v[2:3]
	v_mov_b32_e32 v2, v5
	v_mad_u64_u32 v[2:3], s[4:5], s3, v7, v[2:3]
	v_add_co_u32_e32 v0, vcc, v14, v0
	v_addc_co_u32_e32 v1, vcc, v21, v1, vcc
	v_mov_b32_e32 v5, v2
	global_store_dwordx2 v[0:1], v[50:51], off
	v_lshlrev_b64 v[0:1], 3, v[4:5]
	v_add_u32_e32 v4, 0x318, v6
	v_mad_u64_u32 v[2:3], s[4:5], s2, v4, 0
	v_mul_hi_u32 v5, v24, s1
	v_add_co_u32_e32 v0, vcc, v14, v0
	v_mad_u64_u32 v[3:4], s[4:5], s3, v4, v[3:4]
	v_lshrrev_b32_e32 v4, 8, v5
	v_mad_u32_u24 v6, v4, s0, v24
	v_mad_u64_u32 v[4:5], s[4:5], s2, v6, 0
	v_mov_b32_e32 v48, v15
	v_fmac_f32_e32 v15, 0x3f5db3d7, v30
	v_addc_co_u32_e32 v1, vcc, v21, v1, vcc
	global_store_dwordx2 v[0:1], v[15:16], off
	v_lshlrev_b64 v[0:1], 3, v[2:3]
	v_mov_b32_e32 v2, v5
	v_mad_u64_u32 v[2:3], s[4:5], s3, v6, v[2:3]
	v_add_co_u32_e32 v0, vcc, v14, v0
	v_fmac_f32_e32 v48, 0xbf5db3d7, v30
	v_addc_co_u32_e32 v1, vcc, v21, v1, vcc
	v_mov_b32_e32 v5, v2
	global_store_dwordx2 v[0:1], v[48:49], off
	v_lshlrev_b64 v[0:1], 3, v[4:5]
	v_add_u32_e32 v4, 0x18c, v6
	v_mad_u64_u32 v[2:3], s[4:5], s2, v4, 0
	v_add_u32_e32 v6, 0x318, v6
	v_add_co_u32_e32 v0, vcc, v14, v0
	v_mad_u64_u32 v[3:4], s[4:5], s3, v4, v[3:4]
	v_mad_u64_u32 v[4:5], s[4:5], s2, v6, 0
	v_addc_co_u32_e32 v1, vcc, v21, v1, vcc
	global_store_dwordx2 v[0:1], v[41:42], off
	v_lshlrev_b64 v[0:1], 3, v[2:3]
	v_mov_b32_e32 v2, v5
	v_mad_u64_u32 v[2:3], s[4:5], s3, v6, v[2:3]
	v_mul_hi_u32 v3, v23, s1
	v_add_co_u32_e32 v0, vcc, v14, v0
	v_mov_b32_e32 v5, v2
	v_lshrrev_b32_e32 v2, 8, v3
	v_mad_u32_u24 v6, v2, s0, v23
	v_mad_u64_u32 v[2:3], s[4:5], s2, v6, 0
	v_addc_co_u32_e32 v1, vcc, v21, v1, vcc
	global_store_dwordx2 v[0:1], v[17:18], off
	v_lshlrev_b64 v[0:1], 3, v[4:5]
	v_mad_u64_u32 v[3:4], s[4:5], s3, v6, v[3:4]
	v_add_u32_e32 v7, 0x18c, v6
	v_mad_u64_u32 v[4:5], s[4:5], s2, v7, 0
	v_add_co_u32_e32 v0, vcc, v14, v0
	v_addc_co_u32_e32 v1, vcc, v21, v1, vcc
	global_store_dwordx2 v[0:1], v[19:20], off
	v_lshlrev_b64 v[0:1], 3, v[2:3]
	v_mov_b32_e32 v2, v5
	v_mad_u64_u32 v[2:3], s[4:5], s3, v7, v[2:3]
	v_add_co_u32_e32 v0, vcc, v14, v0
	v_addc_co_u32_e32 v1, vcc, v21, v1, vcc
	v_mov_b32_e32 v5, v2
	global_store_dwordx2 v[0:1], v[43:44], off
	v_lshlrev_b64 v[0:1], 3, v[4:5]
	v_add_u32_e32 v4, 0x318, v6
	v_mad_u64_u32 v[2:3], s[4:5], s2, v4, 0
	v_mul_hi_u32 v5, v22, s1
	v_add_co_u32_e32 v0, vcc, v14, v0
	v_mad_u64_u32 v[3:4], s[4:5], s3, v4, v[3:4]
	v_lshrrev_b32_e32 v4, 8, v5
	v_mad_u32_u24 v6, v4, s0, v22
	v_mad_u64_u32 v[4:5], s[0:1], s2, v6, 0
	v_mov_b32_e32 v64, v60
	v_fmac_f32_e32 v60, 0x3f5db3d7, v68
	v_addc_co_u32_e32 v1, vcc, v21, v1, vcc
	global_store_dwordx2 v[0:1], v[60:61], off
	v_lshlrev_b64 v[0:1], 3, v[2:3]
	v_mov_b32_e32 v2, v5
	v_mad_u64_u32 v[2:3], s[0:1], s3, v6, v[2:3]
	v_add_co_u32_e32 v0, vcc, v14, v0
	v_fmac_f32_e32 v64, 0xbf5db3d7, v68
	v_addc_co_u32_e32 v1, vcc, v21, v1, vcc
	v_mov_b32_e32 v5, v2
	global_store_dwordx2 v[0:1], v[64:65], off
	v_lshlrev_b64 v[0:1], 3, v[4:5]
	v_add_u32_e32 v4, 0x18c, v6
	v_mad_u64_u32 v[2:3], s[0:1], s2, v4, 0
	v_add_u32_e32 v6, 0x318, v6
	v_add_co_u32_e32 v0, vcc, v14, v0
	v_mad_u64_u32 v[3:4], s[0:1], s3, v4, v[3:4]
	v_mad_u64_u32 v[4:5], s[0:1], s2, v6, 0
	v_addc_co_u32_e32 v1, vcc, v21, v1, vcc
	global_store_dwordx2 v[0:1], v[39:40], off
	v_lshlrev_b64 v[0:1], 3, v[2:3]
	v_mov_b32_e32 v2, v5
	v_mad_u64_u32 v[2:3], s[0:1], s3, v6, v[2:3]
	v_mov_b32_e32 v63, v38
	v_mov_b32_e32 v62, v37
	v_add_co_u32_e32 v0, vcc, v14, v0
	v_fmac_f32_e32 v63, 0xbf5db3d7, v55
	v_fmac_f32_e32 v62, 0x3f5db3d7, v58
	v_addc_co_u32_e32 v1, vcc, v21, v1, vcc
	v_mov_b32_e32 v5, v2
	global_store_dwordx2 v[0:1], v[62:63], off
	v_lshlrev_b64 v[0:1], 3, v[4:5]
	v_fmac_f32_e32 v38, 0x3f5db3d7, v55
	v_add_co_u32_e32 v0, vcc, v14, v0
	v_fmac_f32_e32 v37, 0xbf5db3d7, v58
	v_addc_co_u32_e32 v1, vcc, v21, v1, vcc
	global_store_dwordx2 v[0:1], v[37:38], off
.LBB0_22:
	s_endpgm
	.section	.rodata,"a",@progbits
	.p2align	6, 0x0
	.amdhsa_kernel fft_rtc_fwd_len1188_factors_6_11_2_3_3_wgs_198_tpt_66_halfLds_sp_ip_CI_sbrr_dirReg
		.amdhsa_group_segment_fixed_size 0
		.amdhsa_private_segment_fixed_size 0
		.amdhsa_kernarg_size 88
		.amdhsa_user_sgpr_count 6
		.amdhsa_user_sgpr_private_segment_buffer 1
		.amdhsa_user_sgpr_dispatch_ptr 0
		.amdhsa_user_sgpr_queue_ptr 0
		.amdhsa_user_sgpr_kernarg_segment_ptr 1
		.amdhsa_user_sgpr_dispatch_id 0
		.amdhsa_user_sgpr_flat_scratch_init 0
		.amdhsa_user_sgpr_private_segment_size 0
		.amdhsa_uses_dynamic_stack 0
		.amdhsa_system_sgpr_private_segment_wavefront_offset 0
		.amdhsa_system_sgpr_workgroup_id_x 1
		.amdhsa_system_sgpr_workgroup_id_y 0
		.amdhsa_system_sgpr_workgroup_id_z 0
		.amdhsa_system_sgpr_workgroup_info 0
		.amdhsa_system_vgpr_workitem_id 0
		.amdhsa_next_free_vgpr 84
		.amdhsa_next_free_sgpr 24
		.amdhsa_reserve_vcc 1
		.amdhsa_reserve_flat_scratch 0
		.amdhsa_float_round_mode_32 0
		.amdhsa_float_round_mode_16_64 0
		.amdhsa_float_denorm_mode_32 3
		.amdhsa_float_denorm_mode_16_64 3
		.amdhsa_dx10_clamp 1
		.amdhsa_ieee_mode 1
		.amdhsa_fp16_overflow 0
		.amdhsa_exception_fp_ieee_invalid_op 0
		.amdhsa_exception_fp_denorm_src 0
		.amdhsa_exception_fp_ieee_div_zero 0
		.amdhsa_exception_fp_ieee_overflow 0
		.amdhsa_exception_fp_ieee_underflow 0
		.amdhsa_exception_fp_ieee_inexact 0
		.amdhsa_exception_int_div_zero 0
	.end_amdhsa_kernel
	.text
.Lfunc_end0:
	.size	fft_rtc_fwd_len1188_factors_6_11_2_3_3_wgs_198_tpt_66_halfLds_sp_ip_CI_sbrr_dirReg, .Lfunc_end0-fft_rtc_fwd_len1188_factors_6_11_2_3_3_wgs_198_tpt_66_halfLds_sp_ip_CI_sbrr_dirReg
                                        ; -- End function
	.section	.AMDGPU.csdata,"",@progbits
; Kernel info:
; codeLenInByte = 13256
; NumSgprs: 28
; NumVgprs: 84
; ScratchSize: 0
; MemoryBound: 0
; FloatMode: 240
; IeeeMode: 1
; LDSByteSize: 0 bytes/workgroup (compile time only)
; SGPRBlocks: 3
; VGPRBlocks: 20
; NumSGPRsForWavesPerEU: 28
; NumVGPRsForWavesPerEU: 84
; Occupancy: 3
; WaveLimiterHint : 1
; COMPUTE_PGM_RSRC2:SCRATCH_EN: 0
; COMPUTE_PGM_RSRC2:USER_SGPR: 6
; COMPUTE_PGM_RSRC2:TRAP_HANDLER: 0
; COMPUTE_PGM_RSRC2:TGID_X_EN: 1
; COMPUTE_PGM_RSRC2:TGID_Y_EN: 0
; COMPUTE_PGM_RSRC2:TGID_Z_EN: 0
; COMPUTE_PGM_RSRC2:TIDIG_COMP_CNT: 0
	.type	__hip_cuid_9f8f53cf1239b4db,@object ; @__hip_cuid_9f8f53cf1239b4db
	.section	.bss,"aw",@nobits
	.globl	__hip_cuid_9f8f53cf1239b4db
__hip_cuid_9f8f53cf1239b4db:
	.byte	0                               ; 0x0
	.size	__hip_cuid_9f8f53cf1239b4db, 1

	.ident	"AMD clang version 19.0.0git (https://github.com/RadeonOpenCompute/llvm-project roc-6.4.0 25133 c7fe45cf4b819c5991fe208aaa96edf142730f1d)"
	.section	".note.GNU-stack","",@progbits
	.addrsig
	.addrsig_sym __hip_cuid_9f8f53cf1239b4db
	.amdgpu_metadata
---
amdhsa.kernels:
  - .args:
      - .actual_access:  read_only
        .address_space:  global
        .offset:         0
        .size:           8
        .value_kind:     global_buffer
      - .offset:         8
        .size:           8
        .value_kind:     by_value
      - .actual_access:  read_only
        .address_space:  global
        .offset:         16
        .size:           8
        .value_kind:     global_buffer
      - .actual_access:  read_only
        .address_space:  global
        .offset:         24
        .size:           8
        .value_kind:     global_buffer
      - .offset:         32
        .size:           8
        .value_kind:     by_value
      - .actual_access:  read_only
        .address_space:  global
        .offset:         40
        .size:           8
        .value_kind:     global_buffer
      - .actual_access:  read_only
        .address_space:  global
        .offset:         48
        .size:           8
        .value_kind:     global_buffer
      - .offset:         56
        .size:           4
        .value_kind:     by_value
      - .actual_access:  read_only
        .address_space:  global
        .offset:         64
        .size:           8
        .value_kind:     global_buffer
      - .actual_access:  read_only
        .address_space:  global
        .offset:         72
        .size:           8
        .value_kind:     global_buffer
      - .address_space:  global
        .offset:         80
        .size:           8
        .value_kind:     global_buffer
    .group_segment_fixed_size: 0
    .kernarg_segment_align: 8
    .kernarg_segment_size: 88
    .language:       OpenCL C
    .language_version:
      - 2
      - 0
    .max_flat_workgroup_size: 198
    .name:           fft_rtc_fwd_len1188_factors_6_11_2_3_3_wgs_198_tpt_66_halfLds_sp_ip_CI_sbrr_dirReg
    .private_segment_fixed_size: 0
    .sgpr_count:     28
    .sgpr_spill_count: 0
    .symbol:         fft_rtc_fwd_len1188_factors_6_11_2_3_3_wgs_198_tpt_66_halfLds_sp_ip_CI_sbrr_dirReg.kd
    .uniform_work_group_size: 1
    .uses_dynamic_stack: false
    .vgpr_count:     84
    .vgpr_spill_count: 0
    .wavefront_size: 64
amdhsa.target:   amdgcn-amd-amdhsa--gfx906
amdhsa.version:
  - 1
  - 2
...

	.end_amdgpu_metadata
